;; amdgpu-corpus repo=pytorch/pytorch kind=compiled arch=gfx906 opt=O3
	.amdgcn_target "amdgcn-amd-amdhsa--gfx906"
	.amdhsa_code_object_version 6
	.section	.text._ZN7rocprim17ROCPRIM_304000_NS6detail28radix_sort_block_sort_kernelINS1_36wrapped_radix_sort_block_sort_configINS0_13kernel_configILj256ELj4ELj4294967295EEEmN2at4cuda3cub6detail10OpaqueTypeILi8EEEEELb1EPKmPmPKSB_PSB_NS0_19identity_decomposerEEEvT1_T2_T3_T4_jT5_jj,"axG",@progbits,_ZN7rocprim17ROCPRIM_304000_NS6detail28radix_sort_block_sort_kernelINS1_36wrapped_radix_sort_block_sort_configINS0_13kernel_configILj256ELj4ELj4294967295EEEmN2at4cuda3cub6detail10OpaqueTypeILi8EEEEELb1EPKmPmPKSB_PSB_NS0_19identity_decomposerEEEvT1_T2_T3_T4_jT5_jj,comdat
	.protected	_ZN7rocprim17ROCPRIM_304000_NS6detail28radix_sort_block_sort_kernelINS1_36wrapped_radix_sort_block_sort_configINS0_13kernel_configILj256ELj4ELj4294967295EEEmN2at4cuda3cub6detail10OpaqueTypeILi8EEEEELb1EPKmPmPKSB_PSB_NS0_19identity_decomposerEEEvT1_T2_T3_T4_jT5_jj ; -- Begin function _ZN7rocprim17ROCPRIM_304000_NS6detail28radix_sort_block_sort_kernelINS1_36wrapped_radix_sort_block_sort_configINS0_13kernel_configILj256ELj4ELj4294967295EEEmN2at4cuda3cub6detail10OpaqueTypeILi8EEEEELb1EPKmPmPKSB_PSB_NS0_19identity_decomposerEEEvT1_T2_T3_T4_jT5_jj
	.globl	_ZN7rocprim17ROCPRIM_304000_NS6detail28radix_sort_block_sort_kernelINS1_36wrapped_radix_sort_block_sort_configINS0_13kernel_configILj256ELj4ELj4294967295EEEmN2at4cuda3cub6detail10OpaqueTypeILi8EEEEELb1EPKmPmPKSB_PSB_NS0_19identity_decomposerEEEvT1_T2_T3_T4_jT5_jj
	.p2align	8
	.type	_ZN7rocprim17ROCPRIM_304000_NS6detail28radix_sort_block_sort_kernelINS1_36wrapped_radix_sort_block_sort_configINS0_13kernel_configILj256ELj4ELj4294967295EEEmN2at4cuda3cub6detail10OpaqueTypeILi8EEEEELb1EPKmPmPKSB_PSB_NS0_19identity_decomposerEEEvT1_T2_T3_T4_jT5_jj,@function
_ZN7rocprim17ROCPRIM_304000_NS6detail28radix_sort_block_sort_kernelINS1_36wrapped_radix_sort_block_sort_configINS0_13kernel_configILj256ELj4ELj4294967295EEEmN2at4cuda3cub6detail10OpaqueTypeILi8EEEEELb1EPKmPmPKSB_PSB_NS0_19identity_decomposerEEEvT1_T2_T3_T4_jT5_jj: ; @_ZN7rocprim17ROCPRIM_304000_NS6detail28radix_sort_block_sort_kernelINS1_36wrapped_radix_sort_block_sort_configINS0_13kernel_configILj256ELj4ELj4294967295EEEmN2at4cuda3cub6detail10OpaqueTypeILi8EEEEELb1EPKmPmPKSB_PSB_NS0_19identity_decomposerEEEvT1_T2_T3_T4_jT5_jj
; %bb.0:
	s_load_dword s7, s[4:5], 0x20
	s_load_dwordx8 s[36:43], s[4:5], 0x0
	s_lshl_b32 s0, s6, 10
	s_mov_b32 s1, 0
	v_mbcnt_lo_u32_b32 v3, -1, 0
	s_waitcnt lgkmcnt(0)
	s_lshr_b32 s2, s7, 10
	s_cmp_lg_u32 s6, s2
	s_cselect_b64 s[30:31], -1, 0
	s_lshl_b64 s[28:29], s[0:1], 3
	s_add_u32 s1, s36, s28
	v_mbcnt_hi_u32_b32 v19, -1, v3
	s_addc_u32 s3, s37, s29
	v_lshlrev_b32_e32 v21, 2, v0
	v_lshlrev_b32_e32 v22, 3, v19
	v_and_b32_e32 v23, 0x300, v21
	v_mov_b32_e32 v3, s3
	v_add_co_u32_e32 v4, vcc, s1, v22
	v_addc_co_u32_e32 v3, vcc, 0, v3, vcc
	v_lshlrev_b32_e32 v20, 3, v23
	v_add_co_u32_e32 v17, vcc, v4, v20
	s_cmp_eq_u32 s6, s2
	v_addc_co_u32_e32 v18, vcc, 0, v3, vcc
	s_cbranch_scc1 .LBB0_2
; %bb.1:
	s_add_u32 s1, s40, s28
	s_addc_u32 s2, s41, s29
	v_mov_b32_e32 v11, s2
	v_add_co_u32_e32 v12, vcc, s1, v22
	v_addc_co_u32_e32 v11, vcc, 0, v11, vcc
	v_add_co_u32_e32 v24, vcc, v12, v20
	global_load_dwordx2 v[3:4], v[17:18], off
	global_load_dwordx2 v[5:6], v[17:18], off offset:512
	global_load_dwordx2 v[7:8], v[17:18], off offset:1024
	;; [unrolled: 1-line block ×3, first 2 shown]
	v_addc_co_u32_e32 v25, vcc, 0, v11, vcc
	global_load_dwordx2 v[11:12], v[24:25], off
	global_load_dwordx2 v[13:14], v[24:25], off offset:512
	global_load_dwordx2 v[15:16], v[24:25], off offset:1024
	s_mov_b64 s[8:9], -1
	s_sub_i32 s33, s7, s0
	s_cbranch_execz .LBB0_3
	s_branch .LBB0_16
.LBB0_2:
	s_mov_b64 s[8:9], 0
                                        ; implicit-def: $vgpr3_vgpr4_vgpr5_vgpr6_vgpr7_vgpr8_vgpr9_vgpr10
                                        ; implicit-def: $vgpr11_vgpr12
                                        ; implicit-def: $vgpr15_vgpr16
	s_sub_i32 s33, s7, s0
.LBB0_3:
	s_waitcnt vmcnt(2)
	v_add_u32_e32 v11, v19, v23
	v_mov_b32_e32 v3, 0
	v_cmp_gt_u32_e32 vcc, s33, v11
	v_mov_b32_e32 v4, v3
	v_mov_b32_e32 v5, v3
	v_mov_b32_e32 v6, v3
	v_mov_b32_e32 v7, v3
	v_mov_b32_e32 v8, v3
	v_mov_b32_e32 v9, v3
	v_mov_b32_e32 v10, v3
	s_and_saveexec_b64 s[0:1], vcc
	s_cbranch_execz .LBB0_5
; %bb.4:
	global_load_dwordx2 v[23:24], v[17:18], off
	v_mov_b32_e32 v25, v3
	v_mov_b32_e32 v26, v3
	;; [unrolled: 1-line block ×6, first 2 shown]
	s_waitcnt vmcnt(0)
	v_mov_b32_e32 v3, v23
	v_mov_b32_e32 v4, v24
	;; [unrolled: 1-line block ×8, first 2 shown]
.LBB0_5:
	s_or_b64 exec, exec, s[0:1]
	v_add_u32_e32 v12, 64, v11
	v_cmp_gt_u32_e64 s[0:1], s33, v12
	s_and_saveexec_b64 s[2:3], s[0:1]
	s_cbranch_execz .LBB0_7
; %bb.6:
	global_load_dwordx2 v[5:6], v[17:18], off offset:512
.LBB0_7:
	s_or_b64 exec, exec, s[2:3]
	v_add_u32_e32 v12, 0x80, v11
	v_cmp_gt_u32_e64 s[2:3], s33, v12
	s_and_saveexec_b64 s[6:7], s[2:3]
	s_cbranch_execz .LBB0_9
; %bb.8:
	global_load_dwordx2 v[7:8], v[17:18], off offset:1024
.LBB0_9:
	;; [unrolled: 8-line block ×3, first 2 shown]
	s_or_b64 exec, exec, s[6:7]
	s_add_u32 s6, s40, s28
	s_addc_u32 s7, s41, s29
	v_mov_b32_e32 v11, s7
	v_add_co_u32_e64 v12, s[6:7], s6, v22
	v_addc_co_u32_e64 v11, s[6:7], 0, v11, s[6:7]
	v_add_co_u32_e64 v17, s[6:7], v12, v20
	v_addc_co_u32_e64 v18, s[6:7], 0, v11, s[6:7]
                                        ; implicit-def: $vgpr11_vgpr12
	s_and_saveexec_b64 s[6:7], vcc
	s_cbranch_execnz .LBB0_55
; %bb.12:
	s_or_b64 exec, exec, s[6:7]
	s_and_saveexec_b64 s[6:7], s[0:1]
	s_cbranch_execnz .LBB0_56
.LBB0_13:
	s_or_b64 exec, exec, s[6:7]
                                        ; implicit-def: $vgpr15_vgpr16
	s_and_saveexec_b64 s[0:1], s[2:3]
	s_cbranch_execz .LBB0_15
.LBB0_14:
	global_load_dwordx2 v[15:16], v[17:18], off offset:1024
.LBB0_15:
	s_or_b64 exec, exec, s[0:1]
.LBB0_16:
	s_and_saveexec_b64 s[0:1], s[8:9]
	s_cbranch_execz .LBB0_18
; %bb.17:
	s_add_u32 s2, s40, s28
	s_addc_u32 s3, s41, s29
	v_mov_b32_e32 v17, s3
	v_add_co_u32_e32 v18, vcc, s2, v22
	v_addc_co_u32_e32 v22, vcc, 0, v17, vcc
	v_add_co_u32_e32 v17, vcc, v18, v20
	v_addc_co_u32_e32 v18, vcc, 0, v22, vcc
	global_load_dwordx2 v[17:18], v[17:18], off offset:1536
.LBB0_18:
	s_or_b64 exec, exec, s[0:1]
	s_load_dwordx2 s[34:35], s[4:5], 0x28
	s_load_dword s0, s[4:5], 0x3c
	s_mov_b32 s26, 0
	s_mov_b32 s27, s26
	;; [unrolled: 1-line block ×3, first 2 shown]
	v_lshlrev_b32_e32 v41, 2, v21
	s_waitcnt lgkmcnt(0)
	s_lshr_b32 s1, s0, 16
	s_and_b32 s0, s0, 0xffff
	v_mad_u32_u24 v1, v2, s1, v1
	v_mad_u64_u32 v[1:2], s[0:1], v1, s0, v[0:1]
	v_and_b32_e32 v2, 64, v19
	s_mov_b32 s41, s26
	v_lshrrev_b32_e32 v1, 4, v1
	v_and_b32_e32 v42, 0xffffffc, v1
	v_and_b32_e32 v1, 15, v19
	v_cmp_eq_u32_e64 s[0:1], 0, v1
	v_cmp_lt_u32_e64 s[2:3], 1, v1
	v_cmp_lt_u32_e64 s[4:5], 3, v1
	v_cmp_lt_u32_e64 s[6:7], 7, v1
	v_and_b32_e32 v1, 16, v19
	v_cmp_eq_u32_e64 s[8:9], 0, v1
	v_or_b32_e32 v1, 63, v0
	v_cmp_eq_u32_e64 s[12:13], v0, v1
	v_subrev_co_u32_e64 v1, s[18:19], 1, v19
	v_cmp_lt_i32_e32 vcc, v1, v2
	v_cndmask_b32_e32 v1, v1, v19, vcc
	v_lshlrev_b32_e32 v43, 2, v1
	v_lshrrev_b32_e32 v1, 4, v0
	v_and_b32_e32 v44, 12, v1
	v_mul_i32_i24_e32 v1, -12, v0
	v_and_b32_e32 v2, 3, v19
	v_mov_b32_e32 v28, s27
	v_mov_b32_e32 v29, s40
	s_waitcnt vmcnt(6)
	v_not_b32_e32 v4, v4
	v_not_b32_e32 v3, v3
	s_waitcnt vmcnt(0)
	v_not_b32_e32 v6, v6
	s_add_i32 s36, s35, s34
	v_not_b32_e32 v5, v5
	v_not_b32_e32 v8, v8
	;; [unrolled: 1-line block ×5, first 2 shown]
	v_cmp_lt_u32_e64 s[10:11], 31, v19
	v_cmp_gt_u32_e64 s[14:15], 4, v0
	v_cmp_lt_u32_e64 s[16:17], 63, v0
	v_cmp_eq_u32_e64 s[20:21], 0, v0
	v_cmp_eq_u32_e64 s[22:23], 0, v2
	v_cmp_lt_u32_e64 s[24:25], 1, v2
	v_add_u32_e32 v45, -4, v44
	v_lshl_add_u32 v46, v19, 3, v20
	v_mov_b32_e32 v27, s26
	v_mov_b32_e32 v30, s41
	;; [unrolled: 1-line block ×3, first 2 shown]
	v_add_u32_e32 v47, v41, v1
	s_branch .LBB0_20
.LBB0_19:                               ;   in Loop: Header=BB0_20 Depth=1
	s_andn2_b64 vcc, exec, s[26:27]
	s_cbranch_vccz .LBB0_36
.LBB0_20:                               ; =>This Inner Loop Header: Depth=1
	v_mov_b32_e32 v40, v4
	v_mov_b32_e32 v39, v3
	s_min_u32 s26, s35, 8
	s_lshl_b32 s26, -1, s26
	v_lshrrev_b64 v[1:2], s34, v[39:40]
	s_not_b32 s37, s26
	v_and_b32_e32 v3, s37, v1
	v_and_b32_e32 v1, 1, v3
	v_add_co_u32_e32 v2, vcc, -1, v1
	v_addc_co_u32_e64 v4, s[26:27], 0, -1, vcc
	v_cmp_ne_u32_e32 vcc, 0, v1
	v_lshlrev_b32_e32 v32, 30, v3
	v_xor_b32_e32 v1, vcc_hi, v4
	v_cmp_gt_i64_e64 s[26:27], 0, v[31:32]
	v_not_b32_e32 v4, v32
	v_mov_b32_e32 v38, v6
	v_ashrrev_i32_e32 v4, 31, v4
	v_xor_b32_e32 v2, vcc_lo, v2
	v_mov_b32_e32 v37, v5
	v_xor_b32_e32 v5, s27, v4
	v_and_b32_e32 v2, exec_lo, v2
	v_xor_b32_e32 v4, s26, v4
	v_lshlrev_b32_e32 v32, 29, v3
	v_and_b32_e32 v2, v2, v4
	v_cmp_gt_i64_e32 vcc, 0, v[31:32]
	v_not_b32_e32 v4, v32
	v_and_b32_e32 v1, exec_hi, v1
	v_ashrrev_i32_e32 v4, 31, v4
	v_and_b32_e32 v1, v1, v5
	v_xor_b32_e32 v5, vcc_hi, v4
	v_xor_b32_e32 v4, vcc_lo, v4
	v_lshlrev_b32_e32 v32, 28, v3
	v_and_b32_e32 v2, v2, v4
	v_cmp_gt_i64_e32 vcc, 0, v[31:32]
	v_not_b32_e32 v4, v32
	v_ashrrev_i32_e32 v4, 31, v4
	v_and_b32_e32 v1, v1, v5
	v_xor_b32_e32 v5, vcc_hi, v4
	v_xor_b32_e32 v4, vcc_lo, v4
	v_lshlrev_b32_e32 v32, 27, v3
	v_and_b32_e32 v2, v2, v4
	v_cmp_gt_i64_e32 vcc, 0, v[31:32]
	v_not_b32_e32 v4, v32
	;; [unrolled: 8-line block ×5, first 2 shown]
	v_ashrrev_i32_e32 v2, 31, v2
	v_and_b32_e32 v1, v1, v5
	v_xor_b32_e32 v5, vcc_hi, v2
	v_xor_b32_e32 v6, vcc_lo, v2
	v_and_b32_e32 v2, v1, v5
	v_and_b32_e32 v1, v4, v6
	v_mbcnt_lo_u32_b32 v4, v1, 0
	v_mbcnt_hi_u32_b32 v5, v2, v4
	v_cmp_ne_u64_e32 vcc, 0, v[1:2]
	v_mov_b32_e32 v34, v10
	v_mov_b32_e32 v36, v8
	;; [unrolled: 1-line block ×6, first 2 shown]
	v_lshlrev_b32_e32 v3, 4, v3
	v_cmp_eq_u32_e64 s[26:27], 0, v5
	v_mov_b32_e32 v33, v9
	v_mov_b32_e32 v35, v7
	;; [unrolled: 1-line block ×6, first 2 shown]
	s_and_b64 s[40:41], vcc, s[26:27]
	v_add_u32_e32 v6, v42, v3
	ds_write2_b64 v41, v[27:28], v[29:30] offset0:2 offset1:3
	s_waitcnt lgkmcnt(0)
	s_barrier
	; wave barrier
	s_and_saveexec_b64 s[26:27], s[40:41]
; %bb.21:                               ;   in Loop: Header=BB0_20 Depth=1
	v_bcnt_u32_b32 v1, v1, 0
	v_bcnt_u32_b32 v1, v2, v1
	ds_write_b32 v6, v1 offset:16
; %bb.22:                               ;   in Loop: Header=BB0_20 Depth=1
	s_or_b64 exec, exec, s[26:27]
	v_lshrrev_b64 v[1:2], s34, v[37:38]
	v_and_b32_e32 v1, s37, v1
	v_lshlrev_b32_e32 v2, 4, v1
	v_add_u32_e32 v8, v42, v2
	v_and_b32_e32 v2, 1, v1
	v_add_co_u32_e32 v3, vcc, -1, v2
	v_addc_co_u32_e64 v4, s[26:27], 0, -1, vcc
	v_cmp_ne_u32_e32 vcc, 0, v2
	v_lshlrev_b32_e32 v32, 30, v1
	v_xor_b32_e32 v2, vcc_hi, v4
	v_xor_b32_e32 v3, vcc_lo, v3
	v_cmp_gt_i64_e32 vcc, 0, v[31:32]
	v_not_b32_e32 v4, v32
	v_ashrrev_i32_e32 v4, 31, v4
	v_and_b32_e32 v3, exec_lo, v3
	v_xor_b32_e32 v9, vcc_hi, v4
	v_xor_b32_e32 v4, vcc_lo, v4
	v_lshlrev_b32_e32 v32, 29, v1
	v_and_b32_e32 v3, v3, v4
	v_cmp_gt_i64_e32 vcc, 0, v[31:32]
	v_not_b32_e32 v4, v32
	v_and_b32_e32 v2, exec_hi, v2
	v_ashrrev_i32_e32 v4, 31, v4
	v_and_b32_e32 v2, v2, v9
	v_xor_b32_e32 v9, vcc_hi, v4
	v_xor_b32_e32 v4, vcc_lo, v4
	v_lshlrev_b32_e32 v32, 28, v1
	v_and_b32_e32 v3, v3, v4
	v_cmp_gt_i64_e32 vcc, 0, v[31:32]
	v_not_b32_e32 v4, v32
	v_ashrrev_i32_e32 v4, 31, v4
	v_and_b32_e32 v2, v2, v9
	v_xor_b32_e32 v9, vcc_hi, v4
	v_xor_b32_e32 v4, vcc_lo, v4
	v_lshlrev_b32_e32 v32, 27, v1
	v_and_b32_e32 v3, v3, v4
	v_cmp_gt_i64_e32 vcc, 0, v[31:32]
	v_not_b32_e32 v4, v32
	;; [unrolled: 8-line block ×4, first 2 shown]
	v_ashrrev_i32_e32 v4, 31, v4
	v_lshlrev_b32_e32 v32, 24, v1
	v_and_b32_e32 v2, v2, v9
	v_xor_b32_e32 v9, vcc_hi, v4
	v_xor_b32_e32 v4, vcc_lo, v4
	v_cmp_gt_i64_e32 vcc, 0, v[31:32]
	v_not_b32_e32 v1, v32
	v_ashrrev_i32_e32 v1, 31, v1
	v_and_b32_e32 v3, v3, v4
	v_xor_b32_e32 v4, vcc_hi, v1
	v_xor_b32_e32 v1, vcc_lo, v1
	; wave barrier
	ds_read_b32 v7, v8 offset:16
	v_and_b32_e32 v2, v2, v9
	v_and_b32_e32 v1, v3, v1
	;; [unrolled: 1-line block ×3, first 2 shown]
	v_mbcnt_lo_u32_b32 v3, v1, 0
	v_mbcnt_hi_u32_b32 v9, v2, v3
	v_cmp_ne_u64_e32 vcc, 0, v[1:2]
	v_cmp_eq_u32_e64 s[26:27], 0, v9
	s_and_b64 s[40:41], vcc, s[26:27]
	; wave barrier
	s_and_saveexec_b64 s[26:27], s[40:41]
	s_cbranch_execz .LBB0_24
; %bb.23:                               ;   in Loop: Header=BB0_20 Depth=1
	v_bcnt_u32_b32 v1, v1, 0
	v_bcnt_u32_b32 v1, v2, v1
	s_waitcnt lgkmcnt(0)
	v_add_u32_e32 v1, v7, v1
	ds_write_b32 v8, v1 offset:16
.LBB0_24:                               ;   in Loop: Header=BB0_20 Depth=1
	s_or_b64 exec, exec, s[26:27]
	v_lshrrev_b64 v[1:2], s34, v[35:36]
	v_and_b32_e32 v1, s37, v1
	v_lshlrev_b32_e32 v2, 4, v1
	v_add_u32_e32 v11, v42, v2
	v_and_b32_e32 v2, 1, v1
	v_add_co_u32_e32 v3, vcc, -1, v2
	v_addc_co_u32_e64 v4, s[26:27], 0, -1, vcc
	v_cmp_ne_u32_e32 vcc, 0, v2
	v_lshlrev_b32_e32 v32, 30, v1
	v_xor_b32_e32 v2, vcc_hi, v4
	v_xor_b32_e32 v3, vcc_lo, v3
	v_cmp_gt_i64_e32 vcc, 0, v[31:32]
	v_not_b32_e32 v4, v32
	v_ashrrev_i32_e32 v4, 31, v4
	v_and_b32_e32 v3, exec_lo, v3
	v_xor_b32_e32 v12, vcc_hi, v4
	v_xor_b32_e32 v4, vcc_lo, v4
	v_lshlrev_b32_e32 v32, 29, v1
	v_and_b32_e32 v3, v3, v4
	v_cmp_gt_i64_e32 vcc, 0, v[31:32]
	v_not_b32_e32 v4, v32
	v_and_b32_e32 v2, exec_hi, v2
	v_ashrrev_i32_e32 v4, 31, v4
	v_and_b32_e32 v2, v2, v12
	v_xor_b32_e32 v12, vcc_hi, v4
	v_xor_b32_e32 v4, vcc_lo, v4
	v_lshlrev_b32_e32 v32, 28, v1
	v_and_b32_e32 v3, v3, v4
	v_cmp_gt_i64_e32 vcc, 0, v[31:32]
	v_not_b32_e32 v4, v32
	v_ashrrev_i32_e32 v4, 31, v4
	v_and_b32_e32 v2, v2, v12
	v_xor_b32_e32 v12, vcc_hi, v4
	v_xor_b32_e32 v4, vcc_lo, v4
	v_lshlrev_b32_e32 v32, 27, v1
	v_and_b32_e32 v3, v3, v4
	v_cmp_gt_i64_e32 vcc, 0, v[31:32]
	v_not_b32_e32 v4, v32
	;; [unrolled: 8-line block ×4, first 2 shown]
	v_ashrrev_i32_e32 v4, 31, v4
	v_lshlrev_b32_e32 v32, 24, v1
	v_and_b32_e32 v2, v2, v12
	v_xor_b32_e32 v12, vcc_hi, v4
	v_xor_b32_e32 v4, vcc_lo, v4
	v_cmp_gt_i64_e32 vcc, 0, v[31:32]
	v_not_b32_e32 v1, v32
	v_ashrrev_i32_e32 v1, 31, v1
	v_and_b32_e32 v3, v3, v4
	v_xor_b32_e32 v4, vcc_hi, v1
	v_xor_b32_e32 v1, vcc_lo, v1
	; wave barrier
	ds_read_b32 v10, v11 offset:16
	v_and_b32_e32 v2, v2, v12
	v_and_b32_e32 v1, v3, v1
	;; [unrolled: 1-line block ×3, first 2 shown]
	v_mbcnt_lo_u32_b32 v3, v1, 0
	v_mbcnt_hi_u32_b32 v12, v2, v3
	v_cmp_ne_u64_e32 vcc, 0, v[1:2]
	v_cmp_eq_u32_e64 s[26:27], 0, v12
	s_and_b64 s[40:41], vcc, s[26:27]
	; wave barrier
	s_and_saveexec_b64 s[26:27], s[40:41]
	s_cbranch_execz .LBB0_26
; %bb.25:                               ;   in Loop: Header=BB0_20 Depth=1
	v_bcnt_u32_b32 v1, v1, 0
	v_bcnt_u32_b32 v1, v2, v1
	s_waitcnt lgkmcnt(0)
	v_add_u32_e32 v1, v10, v1
	ds_write_b32 v11, v1 offset:16
.LBB0_26:                               ;   in Loop: Header=BB0_20 Depth=1
	s_or_b64 exec, exec, s[26:27]
	v_lshrrev_b64 v[1:2], s34, v[33:34]
	v_and_b32_e32 v1, s37, v1
	v_lshlrev_b32_e32 v2, 4, v1
	v_add_u32_e32 v14, v42, v2
	v_and_b32_e32 v2, 1, v1
	v_add_co_u32_e32 v3, vcc, -1, v2
	v_addc_co_u32_e64 v4, s[26:27], 0, -1, vcc
	v_cmp_ne_u32_e32 vcc, 0, v2
	v_lshlrev_b32_e32 v32, 30, v1
	v_xor_b32_e32 v2, vcc_hi, v4
	v_xor_b32_e32 v3, vcc_lo, v3
	v_cmp_gt_i64_e32 vcc, 0, v[31:32]
	v_not_b32_e32 v4, v32
	v_ashrrev_i32_e32 v4, 31, v4
	v_and_b32_e32 v3, exec_lo, v3
	v_xor_b32_e32 v15, vcc_hi, v4
	v_xor_b32_e32 v4, vcc_lo, v4
	v_lshlrev_b32_e32 v32, 29, v1
	v_and_b32_e32 v3, v3, v4
	v_cmp_gt_i64_e32 vcc, 0, v[31:32]
	v_not_b32_e32 v4, v32
	v_and_b32_e32 v2, exec_hi, v2
	v_ashrrev_i32_e32 v4, 31, v4
	v_and_b32_e32 v2, v2, v15
	v_xor_b32_e32 v15, vcc_hi, v4
	v_xor_b32_e32 v4, vcc_lo, v4
	v_lshlrev_b32_e32 v32, 28, v1
	v_and_b32_e32 v3, v3, v4
	v_cmp_gt_i64_e32 vcc, 0, v[31:32]
	v_not_b32_e32 v4, v32
	v_ashrrev_i32_e32 v4, 31, v4
	v_and_b32_e32 v2, v2, v15
	v_xor_b32_e32 v15, vcc_hi, v4
	v_xor_b32_e32 v4, vcc_lo, v4
	v_lshlrev_b32_e32 v32, 27, v1
	v_and_b32_e32 v3, v3, v4
	v_cmp_gt_i64_e32 vcc, 0, v[31:32]
	v_not_b32_e32 v4, v32
	;; [unrolled: 8-line block ×4, first 2 shown]
	v_ashrrev_i32_e32 v4, 31, v4
	v_lshlrev_b32_e32 v32, 24, v1
	v_and_b32_e32 v2, v2, v15
	v_xor_b32_e32 v15, vcc_hi, v4
	v_xor_b32_e32 v4, vcc_lo, v4
	v_cmp_gt_i64_e32 vcc, 0, v[31:32]
	v_not_b32_e32 v1, v32
	v_ashrrev_i32_e32 v1, 31, v1
	v_and_b32_e32 v3, v3, v4
	v_xor_b32_e32 v4, vcc_hi, v1
	v_xor_b32_e32 v1, vcc_lo, v1
	; wave barrier
	ds_read_b32 v13, v14 offset:16
	v_and_b32_e32 v2, v2, v15
	v_and_b32_e32 v1, v3, v1
	;; [unrolled: 1-line block ×3, first 2 shown]
	v_mbcnt_lo_u32_b32 v3, v1, 0
	v_mbcnt_hi_u32_b32 v15, v2, v3
	v_cmp_ne_u64_e32 vcc, 0, v[1:2]
	v_cmp_eq_u32_e64 s[26:27], 0, v15
	s_and_b64 s[40:41], vcc, s[26:27]
	; wave barrier
	s_and_saveexec_b64 s[26:27], s[40:41]
	s_cbranch_execz .LBB0_28
; %bb.27:                               ;   in Loop: Header=BB0_20 Depth=1
	v_bcnt_u32_b32 v1, v1, 0
	v_bcnt_u32_b32 v1, v2, v1
	s_waitcnt lgkmcnt(0)
	v_add_u32_e32 v1, v13, v1
	ds_write_b32 v14, v1 offset:16
.LBB0_28:                               ;   in Loop: Header=BB0_20 Depth=1
	s_or_b64 exec, exec, s[26:27]
	; wave barrier
	s_waitcnt lgkmcnt(0)
	s_barrier
	ds_read2_b64 v[1:4], v41 offset0:2 offset1:3
	s_waitcnt lgkmcnt(0)
	v_add_u32_e32 v16, v2, v1
	v_add3_u32 v4, v16, v3, v4
	s_nop 1
	v_mov_b32_dpp v16, v4 row_shr:1 row_mask:0xf bank_mask:0xf
	v_cndmask_b32_e64 v16, v16, 0, s[0:1]
	v_add_u32_e32 v4, v16, v4
	s_nop 1
	v_mov_b32_dpp v16, v4 row_shr:2 row_mask:0xf bank_mask:0xf
	v_cndmask_b32_e64 v16, 0, v16, s[2:3]
	v_add_u32_e32 v4, v4, v16
	;; [unrolled: 4-line block ×4, first 2 shown]
	s_nop 1
	v_mov_b32_dpp v16, v4 row_bcast:15 row_mask:0xf bank_mask:0xf
	v_cndmask_b32_e64 v16, v16, 0, s[8:9]
	v_add_u32_e32 v4, v4, v16
	s_nop 1
	v_mov_b32_dpp v16, v4 row_bcast:31 row_mask:0xf bank_mask:0xf
	v_cndmask_b32_e64 v16, 0, v16, s[10:11]
	v_add_u32_e32 v4, v4, v16
	s_and_saveexec_b64 s[26:27], s[12:13]
; %bb.29:                               ;   in Loop: Header=BB0_20 Depth=1
	ds_write_b32 v44, v4
; %bb.30:                               ;   in Loop: Header=BB0_20 Depth=1
	s_or_b64 exec, exec, s[26:27]
	s_waitcnt lgkmcnt(0)
	s_barrier
	s_and_saveexec_b64 s[26:27], s[14:15]
	s_cbranch_execz .LBB0_32
; %bb.31:                               ;   in Loop: Header=BB0_20 Depth=1
	ds_read_b32 v16, v47
	s_waitcnt lgkmcnt(0)
	s_nop 0
	v_mov_b32_dpp v17, v16 row_shr:1 row_mask:0xf bank_mask:0xf
	v_cndmask_b32_e64 v17, v17, 0, s[22:23]
	v_add_u32_e32 v16, v17, v16
	s_nop 1
	v_mov_b32_dpp v17, v16 row_shr:2 row_mask:0xf bank_mask:0xf
	v_cndmask_b32_e64 v17, 0, v17, s[24:25]
	v_add_u32_e32 v16, v16, v17
	ds_write_b32 v47, v16
.LBB0_32:                               ;   in Loop: Header=BB0_20 Depth=1
	s_or_b64 exec, exec, s[26:27]
	v_mov_b32_e32 v16, 0
	s_waitcnt lgkmcnt(0)
	s_barrier
	s_and_saveexec_b64 s[26:27], s[16:17]
; %bb.33:                               ;   in Loop: Header=BB0_20 Depth=1
	ds_read_b32 v16, v45
; %bb.34:                               ;   in Loop: Header=BB0_20 Depth=1
	s_or_b64 exec, exec, s[26:27]
	s_waitcnt lgkmcnt(0)
	v_add_u32_e32 v4, v16, v4
	ds_bpermute_b32 v4, v43, v4
	v_lshlrev_b32_e32 v5, 3, v5
	s_add_i32 s34, s34, 8
	s_cmp_ge_u32 s34, s36
	s_mov_b64 s[26:27], -1
	s_waitcnt lgkmcnt(0)
	v_cndmask_b32_e64 v4, v4, v16, s[18:19]
	v_cndmask_b32_e64 v16, v4, 0, s[20:21]
	v_add_u32_e32 v17, v16, v1
	v_add_u32_e32 v1, v17, v2
	;; [unrolled: 1-line block ×3, first 2 shown]
	ds_write2_b64 v41, v[16:17], v[1:2] offset0:2 offset1:3
	s_waitcnt lgkmcnt(0)
	s_barrier
	ds_read_b32 v1, v6 offset:16
	ds_read_b32 v2, v8 offset:16
	;; [unrolled: 1-line block ×4, first 2 shown]
	v_lshlrev_b32_e32 v6, 3, v7
	s_waitcnt lgkmcnt(3)
	v_lshl_add_u32 v1, v1, 3, v5
	v_lshlrev_b32_e32 v5, 3, v9
	s_waitcnt lgkmcnt(2)
	v_lshlrev_b32_e32 v2, 3, v2
	v_add3_u32 v2, v5, v6, v2
	v_lshlrev_b32_e32 v5, 3, v12
	v_lshlrev_b32_e32 v6, 3, v10
	s_waitcnt lgkmcnt(1)
	v_lshlrev_b32_e32 v3, 3, v3
	v_add3_u32 v32, v5, v6, v3
	v_lshlrev_b32_e32 v3, 3, v15
	v_lshlrev_b32_e32 v5, 3, v13
	s_waitcnt lgkmcnt(0)
	v_lshlrev_b32_e32 v4, 3, v4
	v_add3_u32 v48, v3, v5, v4
                                        ; implicit-def: $vgpr9_vgpr10
                                        ; implicit-def: $vgpr5_vgpr6
                                        ; implicit-def: $vgpr11_vgpr12
                                        ; implicit-def: $vgpr15_vgpr16
	s_cbranch_scc1 .LBB0_19
; %bb.35:                               ;   in Loop: Header=BB0_20 Depth=1
	s_barrier
	ds_write_b64 v1, v[39:40]
	ds_write_b64 v2, v[37:38]
	;; [unrolled: 1-line block ×4, first 2 shown]
	s_waitcnt lgkmcnt(0)
	s_barrier
	ds_read2st64_b64 v[3:6], v46 offset1:1
	ds_read2st64_b64 v[7:10], v46 offset0:2 offset1:3
	s_waitcnt lgkmcnt(0)
	s_barrier
	ds_write_b64 v1, v[25:26]
	ds_write_b64 v2, v[23:24]
	;; [unrolled: 1-line block ×4, first 2 shown]
	s_waitcnt lgkmcnt(0)
	s_barrier
	ds_read2st64_b64 v[11:14], v46 offset1:1
	ds_read2st64_b64 v[15:18], v46 offset0:2 offset1:3
	s_add_i32 s35, s35, -8
	s_mov_b64 s[26:27], 0
	s_waitcnt lgkmcnt(0)
	s_barrier
	s_branch .LBB0_19
.LBB0_36:
	v_lshlrev_b32_e32 v27, 3, v0
	s_barrier
	ds_write_b64 v1, v[39:40]
	ds_write_b64 v2, v[37:38]
	;; [unrolled: 1-line block ×4, first 2 shown]
	s_waitcnt lgkmcnt(0)
	s_barrier
	ds_read2st64_b64 v[9:12], v27 offset1:4
	ds_read2st64_b64 v[28:31], v27 offset0:8 offset1:12
	s_waitcnt lgkmcnt(0)
	s_barrier
	ds_write_b64 v1, v[25:26]
	ds_write_b64 v2, v[23:24]
	;; [unrolled: 1-line block ×4, first 2 shown]
	s_waitcnt lgkmcnt(0)
	s_barrier
	ds_read2st64_b64 v[5:8], v27 offset1:4
	ds_read2st64_b64 v[1:4], v27 offset0:8 offset1:12
	s_add_u32 s0, s38, s28
	s_addc_u32 s1, s39, s29
	v_mov_b32_e32 v14, s1
	v_add_co_u32_e64 v13, s[0:1], s0, v27
	v_not_b32_e32 v18, v10
	v_not_b32_e32 v17, v9
	;; [unrolled: 1-line block ×8, first 2 shown]
	s_andn2_b64 vcc, exec, s[30:31]
	v_addc_co_u32_e64 v14, s[0:1], 0, v14, s[0:1]
	s_cbranch_vccnz .LBB0_38
; %bb.37:
	v_add_co_u32_e32 v19, vcc, 0x1000, v13
	s_add_u32 s0, s42, s28
	v_addc_co_u32_e32 v20, vcc, 0, v14, vcc
	s_addc_u32 s1, s43, s29
	global_store_dwordx2 v[13:14], v[17:18], off
	global_store_dwordx2 v[13:14], v[15:16], off offset:2048
	global_store_dwordx2 v[19:20], v[11:12], off
	global_store_dwordx2 v[19:20], v[9:10], off offset:2048
	v_mov_b32_e32 v19, s1
	v_add_co_u32_e32 v20, vcc, s0, v27
	v_addc_co_u32_e32 v21, vcc, 0, v19, vcc
	v_add_co_u32_e32 v19, vcc, 0x1000, v20
	s_waitcnt lgkmcnt(1)
	global_store_dwordx2 v27, v[5:6], s[0:1]
	global_store_dwordx2 v27, v[7:8], s[0:1] offset:2048
	v_addc_co_u32_e32 v20, vcc, 0, v21, vcc
	s_mov_b64 s[6:7], -1
	s_waitcnt lgkmcnt(0)
	global_store_dwordx2 v[19:20], v[1:2], off
	s_cbranch_execz .LBB0_39
	s_branch .LBB0_52
.LBB0_38:
	s_mov_b64 s[6:7], 0
.LBB0_39:
	v_cmp_gt_u32_e64 s[0:1], s33, v0
	s_and_saveexec_b64 s[2:3], s[0:1]
	s_cbranch_execz .LBB0_41
; %bb.40:
	global_store_dwordx2 v[13:14], v[17:18], off
.LBB0_41:
	s_or_b64 exec, exec, s[2:3]
	v_or_b32_e32 v17, 0x100, v0
	v_cmp_gt_u32_e64 s[2:3], s33, v17
	s_and_saveexec_b64 s[4:5], s[2:3]
	s_cbranch_execz .LBB0_43
; %bb.42:
	global_store_dwordx2 v[13:14], v[15:16], off offset:2048
.LBB0_43:
	s_or_b64 exec, exec, s[4:5]
	v_or_b32_e32 v15, 0x200, v0
	v_cmp_gt_u32_e64 s[4:5], s33, v15
	s_and_saveexec_b64 s[6:7], s[4:5]
	s_cbranch_execz .LBB0_45
; %bb.44:
	v_add_co_u32_e32 v15, vcc, 0x1000, v13
	v_addc_co_u32_e32 v16, vcc, 0, v14, vcc
	global_store_dwordx2 v[15:16], v[11:12], off
.LBB0_45:
	s_or_b64 exec, exec, s[6:7]
	v_or_b32_e32 v0, 0x300, v0
	v_cmp_gt_u32_e64 s[6:7], s33, v0
	s_and_saveexec_b64 s[8:9], s[6:7]
	s_cbranch_execz .LBB0_47
; %bb.46:
	v_add_co_u32_e32 v11, vcc, 0x1000, v13
	v_addc_co_u32_e32 v12, vcc, 0, v14, vcc
	global_store_dwordx2 v[11:12], v[9:10], off offset:2048
.LBB0_47:
	s_or_b64 exec, exec, s[8:9]
	s_add_u32 s8, s42, s28
	s_addc_u32 s9, s43, s29
	v_mov_b32_e32 v0, s9
	v_add_co_u32_e32 v9, vcc, s8, v27
	v_addc_co_u32_e32 v10, vcc, 0, v0, vcc
	s_and_saveexec_b64 s[8:9], s[0:1]
	s_cbranch_execnz .LBB0_57
; %bb.48:
	s_or_b64 exec, exec, s[8:9]
	s_and_saveexec_b64 s[0:1], s[2:3]
	s_cbranch_execnz .LBB0_58
.LBB0_49:
	s_or_b64 exec, exec, s[0:1]
	s_and_saveexec_b64 s[0:1], s[4:5]
	s_cbranch_execz .LBB0_51
.LBB0_50:
	s_waitcnt lgkmcnt(1)
	v_add_co_u32_e32 v5, vcc, 0x1000, v9
	v_addc_co_u32_e32 v6, vcc, 0, v10, vcc
	s_waitcnt lgkmcnt(0)
	global_store_dwordx2 v[5:6], v[1:2], off
.LBB0_51:
	s_or_b64 exec, exec, s[0:1]
.LBB0_52:
	s_and_saveexec_b64 s[0:1], s[6:7]
	s_cbranch_execnz .LBB0_54
; %bb.53:
	s_endpgm
.LBB0_54:
	s_add_u32 s0, s42, s28
	s_addc_u32 s1, s43, s29
	v_mov_b32_e32 v0, s1
	s_waitcnt lgkmcnt(0)
	v_add_co_u32_e32 v1, vcc, s0, v27
	v_addc_co_u32_e32 v2, vcc, 0, v0, vcc
	v_add_co_u32_e32 v0, vcc, 0x1000, v1
	v_addc_co_u32_e32 v1, vcc, 0, v2, vcc
	global_store_dwordx2 v[0:1], v[3:4], off offset:2048
	s_endpgm
.LBB0_55:
	global_load_dwordx2 v[11:12], v[17:18], off
	s_or_b64 exec, exec, s[6:7]
	s_and_saveexec_b64 s[6:7], s[0:1]
	s_cbranch_execz .LBB0_13
.LBB0_56:
	global_load_dwordx2 v[13:14], v[17:18], off offset:512
	s_or_b64 exec, exec, s[6:7]
                                        ; implicit-def: $vgpr15_vgpr16
	s_and_saveexec_b64 s[0:1], s[2:3]
	s_cbranch_execnz .LBB0_14
	s_branch .LBB0_15
.LBB0_57:
	s_waitcnt lgkmcnt(1)
	global_store_dwordx2 v[9:10], v[5:6], off
	s_or_b64 exec, exec, s[8:9]
	s_and_saveexec_b64 s[0:1], s[2:3]
	s_cbranch_execz .LBB0_49
.LBB0_58:
	s_waitcnt lgkmcnt(1)
	global_store_dwordx2 v[9:10], v[7:8], off offset:2048
	s_or_b64 exec, exec, s[0:1]
	s_and_saveexec_b64 s[0:1], s[4:5]
	s_cbranch_execnz .LBB0_50
	s_branch .LBB0_51
	.section	.rodata,"a",@progbits
	.p2align	6, 0x0
	.amdhsa_kernel _ZN7rocprim17ROCPRIM_304000_NS6detail28radix_sort_block_sort_kernelINS1_36wrapped_radix_sort_block_sort_configINS0_13kernel_configILj256ELj4ELj4294967295EEEmN2at4cuda3cub6detail10OpaqueTypeILi8EEEEELb1EPKmPmPKSB_PSB_NS0_19identity_decomposerEEEvT1_T2_T3_T4_jT5_jj
		.amdhsa_group_segment_fixed_size 8192
		.amdhsa_private_segment_fixed_size 0
		.amdhsa_kernarg_size 304
		.amdhsa_user_sgpr_count 6
		.amdhsa_user_sgpr_private_segment_buffer 1
		.amdhsa_user_sgpr_dispatch_ptr 0
		.amdhsa_user_sgpr_queue_ptr 0
		.amdhsa_user_sgpr_kernarg_segment_ptr 1
		.amdhsa_user_sgpr_dispatch_id 0
		.amdhsa_user_sgpr_flat_scratch_init 0
		.amdhsa_user_sgpr_private_segment_size 0
		.amdhsa_uses_dynamic_stack 0
		.amdhsa_system_sgpr_private_segment_wavefront_offset 0
		.amdhsa_system_sgpr_workgroup_id_x 1
		.amdhsa_system_sgpr_workgroup_id_y 0
		.amdhsa_system_sgpr_workgroup_id_z 0
		.amdhsa_system_sgpr_workgroup_info 0
		.amdhsa_system_vgpr_workitem_id 2
		.amdhsa_next_free_vgpr 49
		.amdhsa_next_free_sgpr 61
		.amdhsa_reserve_vcc 1
		.amdhsa_reserve_flat_scratch 0
		.amdhsa_float_round_mode_32 0
		.amdhsa_float_round_mode_16_64 0
		.amdhsa_float_denorm_mode_32 3
		.amdhsa_float_denorm_mode_16_64 3
		.amdhsa_dx10_clamp 1
		.amdhsa_ieee_mode 1
		.amdhsa_fp16_overflow 0
		.amdhsa_exception_fp_ieee_invalid_op 0
		.amdhsa_exception_fp_denorm_src 0
		.amdhsa_exception_fp_ieee_div_zero 0
		.amdhsa_exception_fp_ieee_overflow 0
		.amdhsa_exception_fp_ieee_underflow 0
		.amdhsa_exception_fp_ieee_inexact 0
		.amdhsa_exception_int_div_zero 0
	.end_amdhsa_kernel
	.section	.text._ZN7rocprim17ROCPRIM_304000_NS6detail28radix_sort_block_sort_kernelINS1_36wrapped_radix_sort_block_sort_configINS0_13kernel_configILj256ELj4ELj4294967295EEEmN2at4cuda3cub6detail10OpaqueTypeILi8EEEEELb1EPKmPmPKSB_PSB_NS0_19identity_decomposerEEEvT1_T2_T3_T4_jT5_jj,"axG",@progbits,_ZN7rocprim17ROCPRIM_304000_NS6detail28radix_sort_block_sort_kernelINS1_36wrapped_radix_sort_block_sort_configINS0_13kernel_configILj256ELj4ELj4294967295EEEmN2at4cuda3cub6detail10OpaqueTypeILi8EEEEELb1EPKmPmPKSB_PSB_NS0_19identity_decomposerEEEvT1_T2_T3_T4_jT5_jj,comdat
.Lfunc_end0:
	.size	_ZN7rocprim17ROCPRIM_304000_NS6detail28radix_sort_block_sort_kernelINS1_36wrapped_radix_sort_block_sort_configINS0_13kernel_configILj256ELj4ELj4294967295EEEmN2at4cuda3cub6detail10OpaqueTypeILi8EEEEELb1EPKmPmPKSB_PSB_NS0_19identity_decomposerEEEvT1_T2_T3_T4_jT5_jj, .Lfunc_end0-_ZN7rocprim17ROCPRIM_304000_NS6detail28radix_sort_block_sort_kernelINS1_36wrapped_radix_sort_block_sort_configINS0_13kernel_configILj256ELj4ELj4294967295EEEmN2at4cuda3cub6detail10OpaqueTypeILi8EEEEELb1EPKmPmPKSB_PSB_NS0_19identity_decomposerEEEvT1_T2_T3_T4_jT5_jj
                                        ; -- End function
	.set _ZN7rocprim17ROCPRIM_304000_NS6detail28radix_sort_block_sort_kernelINS1_36wrapped_radix_sort_block_sort_configINS0_13kernel_configILj256ELj4ELj4294967295EEEmN2at4cuda3cub6detail10OpaqueTypeILi8EEEEELb1EPKmPmPKSB_PSB_NS0_19identity_decomposerEEEvT1_T2_T3_T4_jT5_jj.num_vgpr, 49
	.set _ZN7rocprim17ROCPRIM_304000_NS6detail28radix_sort_block_sort_kernelINS1_36wrapped_radix_sort_block_sort_configINS0_13kernel_configILj256ELj4ELj4294967295EEEmN2at4cuda3cub6detail10OpaqueTypeILi8EEEEELb1EPKmPmPKSB_PSB_NS0_19identity_decomposerEEEvT1_T2_T3_T4_jT5_jj.num_agpr, 0
	.set _ZN7rocprim17ROCPRIM_304000_NS6detail28radix_sort_block_sort_kernelINS1_36wrapped_radix_sort_block_sort_configINS0_13kernel_configILj256ELj4ELj4294967295EEEmN2at4cuda3cub6detail10OpaqueTypeILi8EEEEELb1EPKmPmPKSB_PSB_NS0_19identity_decomposerEEEvT1_T2_T3_T4_jT5_jj.numbered_sgpr, 44
	.set _ZN7rocprim17ROCPRIM_304000_NS6detail28radix_sort_block_sort_kernelINS1_36wrapped_radix_sort_block_sort_configINS0_13kernel_configILj256ELj4ELj4294967295EEEmN2at4cuda3cub6detail10OpaqueTypeILi8EEEEELb1EPKmPmPKSB_PSB_NS0_19identity_decomposerEEEvT1_T2_T3_T4_jT5_jj.num_named_barrier, 0
	.set _ZN7rocprim17ROCPRIM_304000_NS6detail28radix_sort_block_sort_kernelINS1_36wrapped_radix_sort_block_sort_configINS0_13kernel_configILj256ELj4ELj4294967295EEEmN2at4cuda3cub6detail10OpaqueTypeILi8EEEEELb1EPKmPmPKSB_PSB_NS0_19identity_decomposerEEEvT1_T2_T3_T4_jT5_jj.private_seg_size, 0
	.set _ZN7rocprim17ROCPRIM_304000_NS6detail28radix_sort_block_sort_kernelINS1_36wrapped_radix_sort_block_sort_configINS0_13kernel_configILj256ELj4ELj4294967295EEEmN2at4cuda3cub6detail10OpaqueTypeILi8EEEEELb1EPKmPmPKSB_PSB_NS0_19identity_decomposerEEEvT1_T2_T3_T4_jT5_jj.uses_vcc, 1
	.set _ZN7rocprim17ROCPRIM_304000_NS6detail28radix_sort_block_sort_kernelINS1_36wrapped_radix_sort_block_sort_configINS0_13kernel_configILj256ELj4ELj4294967295EEEmN2at4cuda3cub6detail10OpaqueTypeILi8EEEEELb1EPKmPmPKSB_PSB_NS0_19identity_decomposerEEEvT1_T2_T3_T4_jT5_jj.uses_flat_scratch, 0
	.set _ZN7rocprim17ROCPRIM_304000_NS6detail28radix_sort_block_sort_kernelINS1_36wrapped_radix_sort_block_sort_configINS0_13kernel_configILj256ELj4ELj4294967295EEEmN2at4cuda3cub6detail10OpaqueTypeILi8EEEEELb1EPKmPmPKSB_PSB_NS0_19identity_decomposerEEEvT1_T2_T3_T4_jT5_jj.has_dyn_sized_stack, 0
	.set _ZN7rocprim17ROCPRIM_304000_NS6detail28radix_sort_block_sort_kernelINS1_36wrapped_radix_sort_block_sort_configINS0_13kernel_configILj256ELj4ELj4294967295EEEmN2at4cuda3cub6detail10OpaqueTypeILi8EEEEELb1EPKmPmPKSB_PSB_NS0_19identity_decomposerEEEvT1_T2_T3_T4_jT5_jj.has_recursion, 0
	.set _ZN7rocprim17ROCPRIM_304000_NS6detail28radix_sort_block_sort_kernelINS1_36wrapped_radix_sort_block_sort_configINS0_13kernel_configILj256ELj4ELj4294967295EEEmN2at4cuda3cub6detail10OpaqueTypeILi8EEEEELb1EPKmPmPKSB_PSB_NS0_19identity_decomposerEEEvT1_T2_T3_T4_jT5_jj.has_indirect_call, 0
	.section	.AMDGPU.csdata,"",@progbits
; Kernel info:
; codeLenInByte = 3812
; TotalNumSgprs: 48
; NumVgprs: 49
; ScratchSize: 0
; MemoryBound: 1
; FloatMode: 240
; IeeeMode: 1
; LDSByteSize: 8192 bytes/workgroup (compile time only)
; SGPRBlocks: 8
; VGPRBlocks: 12
; NumSGPRsForWavesPerEU: 65
; NumVGPRsForWavesPerEU: 49
; Occupancy: 4
; WaveLimiterHint : 1
; COMPUTE_PGM_RSRC2:SCRATCH_EN: 0
; COMPUTE_PGM_RSRC2:USER_SGPR: 6
; COMPUTE_PGM_RSRC2:TRAP_HANDLER: 0
; COMPUTE_PGM_RSRC2:TGID_X_EN: 1
; COMPUTE_PGM_RSRC2:TGID_Y_EN: 0
; COMPUTE_PGM_RSRC2:TGID_Z_EN: 0
; COMPUTE_PGM_RSRC2:TIDIG_COMP_CNT: 2
	.section	.text._ZN7rocprim17ROCPRIM_304000_NS6detail39device_merge_sort_compile_time_verifierINS1_36wrapped_merge_sort_block_sort_configINS1_28merge_sort_block_sort_configILj256ELj4ELNS0_20block_sort_algorithmE0EEEmN2at4cuda3cub6detail10OpaqueTypeILi8EEEEENS1_37wrapped_merge_sort_block_merge_configINS0_14default_configEmSC_EEEEvv,"axG",@progbits,_ZN7rocprim17ROCPRIM_304000_NS6detail39device_merge_sort_compile_time_verifierINS1_36wrapped_merge_sort_block_sort_configINS1_28merge_sort_block_sort_configILj256ELj4ELNS0_20block_sort_algorithmE0EEEmN2at4cuda3cub6detail10OpaqueTypeILi8EEEEENS1_37wrapped_merge_sort_block_merge_configINS0_14default_configEmSC_EEEEvv,comdat
	.protected	_ZN7rocprim17ROCPRIM_304000_NS6detail39device_merge_sort_compile_time_verifierINS1_36wrapped_merge_sort_block_sort_configINS1_28merge_sort_block_sort_configILj256ELj4ELNS0_20block_sort_algorithmE0EEEmN2at4cuda3cub6detail10OpaqueTypeILi8EEEEENS1_37wrapped_merge_sort_block_merge_configINS0_14default_configEmSC_EEEEvv ; -- Begin function _ZN7rocprim17ROCPRIM_304000_NS6detail39device_merge_sort_compile_time_verifierINS1_36wrapped_merge_sort_block_sort_configINS1_28merge_sort_block_sort_configILj256ELj4ELNS0_20block_sort_algorithmE0EEEmN2at4cuda3cub6detail10OpaqueTypeILi8EEEEENS1_37wrapped_merge_sort_block_merge_configINS0_14default_configEmSC_EEEEvv
	.globl	_ZN7rocprim17ROCPRIM_304000_NS6detail39device_merge_sort_compile_time_verifierINS1_36wrapped_merge_sort_block_sort_configINS1_28merge_sort_block_sort_configILj256ELj4ELNS0_20block_sort_algorithmE0EEEmN2at4cuda3cub6detail10OpaqueTypeILi8EEEEENS1_37wrapped_merge_sort_block_merge_configINS0_14default_configEmSC_EEEEvv
	.p2align	8
	.type	_ZN7rocprim17ROCPRIM_304000_NS6detail39device_merge_sort_compile_time_verifierINS1_36wrapped_merge_sort_block_sort_configINS1_28merge_sort_block_sort_configILj256ELj4ELNS0_20block_sort_algorithmE0EEEmN2at4cuda3cub6detail10OpaqueTypeILi8EEEEENS1_37wrapped_merge_sort_block_merge_configINS0_14default_configEmSC_EEEEvv,@function
_ZN7rocprim17ROCPRIM_304000_NS6detail39device_merge_sort_compile_time_verifierINS1_36wrapped_merge_sort_block_sort_configINS1_28merge_sort_block_sort_configILj256ELj4ELNS0_20block_sort_algorithmE0EEEmN2at4cuda3cub6detail10OpaqueTypeILi8EEEEENS1_37wrapped_merge_sort_block_merge_configINS0_14default_configEmSC_EEEEvv: ; @_ZN7rocprim17ROCPRIM_304000_NS6detail39device_merge_sort_compile_time_verifierINS1_36wrapped_merge_sort_block_sort_configINS1_28merge_sort_block_sort_configILj256ELj4ELNS0_20block_sort_algorithmE0EEEmN2at4cuda3cub6detail10OpaqueTypeILi8EEEEENS1_37wrapped_merge_sort_block_merge_configINS0_14default_configEmSC_EEEEvv
; %bb.0:
	s_endpgm
	.section	.rodata,"a",@progbits
	.p2align	6, 0x0
	.amdhsa_kernel _ZN7rocprim17ROCPRIM_304000_NS6detail39device_merge_sort_compile_time_verifierINS1_36wrapped_merge_sort_block_sort_configINS1_28merge_sort_block_sort_configILj256ELj4ELNS0_20block_sort_algorithmE0EEEmN2at4cuda3cub6detail10OpaqueTypeILi8EEEEENS1_37wrapped_merge_sort_block_merge_configINS0_14default_configEmSC_EEEEvv
		.amdhsa_group_segment_fixed_size 0
		.amdhsa_private_segment_fixed_size 0
		.amdhsa_kernarg_size 0
		.amdhsa_user_sgpr_count 4
		.amdhsa_user_sgpr_private_segment_buffer 1
		.amdhsa_user_sgpr_dispatch_ptr 0
		.amdhsa_user_sgpr_queue_ptr 0
		.amdhsa_user_sgpr_kernarg_segment_ptr 0
		.amdhsa_user_sgpr_dispatch_id 0
		.amdhsa_user_sgpr_flat_scratch_init 0
		.amdhsa_user_sgpr_private_segment_size 0
		.amdhsa_uses_dynamic_stack 0
		.amdhsa_system_sgpr_private_segment_wavefront_offset 0
		.amdhsa_system_sgpr_workgroup_id_x 1
		.amdhsa_system_sgpr_workgroup_id_y 0
		.amdhsa_system_sgpr_workgroup_id_z 0
		.amdhsa_system_sgpr_workgroup_info 0
		.amdhsa_system_vgpr_workitem_id 0
		.amdhsa_next_free_vgpr 1
		.amdhsa_next_free_sgpr 0
		.amdhsa_reserve_vcc 0
		.amdhsa_reserve_flat_scratch 0
		.amdhsa_float_round_mode_32 0
		.amdhsa_float_round_mode_16_64 0
		.amdhsa_float_denorm_mode_32 3
		.amdhsa_float_denorm_mode_16_64 3
		.amdhsa_dx10_clamp 1
		.amdhsa_ieee_mode 1
		.amdhsa_fp16_overflow 0
		.amdhsa_exception_fp_ieee_invalid_op 0
		.amdhsa_exception_fp_denorm_src 0
		.amdhsa_exception_fp_ieee_div_zero 0
		.amdhsa_exception_fp_ieee_overflow 0
		.amdhsa_exception_fp_ieee_underflow 0
		.amdhsa_exception_fp_ieee_inexact 0
		.amdhsa_exception_int_div_zero 0
	.end_amdhsa_kernel
	.section	.text._ZN7rocprim17ROCPRIM_304000_NS6detail39device_merge_sort_compile_time_verifierINS1_36wrapped_merge_sort_block_sort_configINS1_28merge_sort_block_sort_configILj256ELj4ELNS0_20block_sort_algorithmE0EEEmN2at4cuda3cub6detail10OpaqueTypeILi8EEEEENS1_37wrapped_merge_sort_block_merge_configINS0_14default_configEmSC_EEEEvv,"axG",@progbits,_ZN7rocprim17ROCPRIM_304000_NS6detail39device_merge_sort_compile_time_verifierINS1_36wrapped_merge_sort_block_sort_configINS1_28merge_sort_block_sort_configILj256ELj4ELNS0_20block_sort_algorithmE0EEEmN2at4cuda3cub6detail10OpaqueTypeILi8EEEEENS1_37wrapped_merge_sort_block_merge_configINS0_14default_configEmSC_EEEEvv,comdat
.Lfunc_end1:
	.size	_ZN7rocprim17ROCPRIM_304000_NS6detail39device_merge_sort_compile_time_verifierINS1_36wrapped_merge_sort_block_sort_configINS1_28merge_sort_block_sort_configILj256ELj4ELNS0_20block_sort_algorithmE0EEEmN2at4cuda3cub6detail10OpaqueTypeILi8EEEEENS1_37wrapped_merge_sort_block_merge_configINS0_14default_configEmSC_EEEEvv, .Lfunc_end1-_ZN7rocprim17ROCPRIM_304000_NS6detail39device_merge_sort_compile_time_verifierINS1_36wrapped_merge_sort_block_sort_configINS1_28merge_sort_block_sort_configILj256ELj4ELNS0_20block_sort_algorithmE0EEEmN2at4cuda3cub6detail10OpaqueTypeILi8EEEEENS1_37wrapped_merge_sort_block_merge_configINS0_14default_configEmSC_EEEEvv
                                        ; -- End function
	.set _ZN7rocprim17ROCPRIM_304000_NS6detail39device_merge_sort_compile_time_verifierINS1_36wrapped_merge_sort_block_sort_configINS1_28merge_sort_block_sort_configILj256ELj4ELNS0_20block_sort_algorithmE0EEEmN2at4cuda3cub6detail10OpaqueTypeILi8EEEEENS1_37wrapped_merge_sort_block_merge_configINS0_14default_configEmSC_EEEEvv.num_vgpr, 0
	.set _ZN7rocprim17ROCPRIM_304000_NS6detail39device_merge_sort_compile_time_verifierINS1_36wrapped_merge_sort_block_sort_configINS1_28merge_sort_block_sort_configILj256ELj4ELNS0_20block_sort_algorithmE0EEEmN2at4cuda3cub6detail10OpaqueTypeILi8EEEEENS1_37wrapped_merge_sort_block_merge_configINS0_14default_configEmSC_EEEEvv.num_agpr, 0
	.set _ZN7rocprim17ROCPRIM_304000_NS6detail39device_merge_sort_compile_time_verifierINS1_36wrapped_merge_sort_block_sort_configINS1_28merge_sort_block_sort_configILj256ELj4ELNS0_20block_sort_algorithmE0EEEmN2at4cuda3cub6detail10OpaqueTypeILi8EEEEENS1_37wrapped_merge_sort_block_merge_configINS0_14default_configEmSC_EEEEvv.numbered_sgpr, 0
	.set _ZN7rocprim17ROCPRIM_304000_NS6detail39device_merge_sort_compile_time_verifierINS1_36wrapped_merge_sort_block_sort_configINS1_28merge_sort_block_sort_configILj256ELj4ELNS0_20block_sort_algorithmE0EEEmN2at4cuda3cub6detail10OpaqueTypeILi8EEEEENS1_37wrapped_merge_sort_block_merge_configINS0_14default_configEmSC_EEEEvv.num_named_barrier, 0
	.set _ZN7rocprim17ROCPRIM_304000_NS6detail39device_merge_sort_compile_time_verifierINS1_36wrapped_merge_sort_block_sort_configINS1_28merge_sort_block_sort_configILj256ELj4ELNS0_20block_sort_algorithmE0EEEmN2at4cuda3cub6detail10OpaqueTypeILi8EEEEENS1_37wrapped_merge_sort_block_merge_configINS0_14default_configEmSC_EEEEvv.private_seg_size, 0
	.set _ZN7rocprim17ROCPRIM_304000_NS6detail39device_merge_sort_compile_time_verifierINS1_36wrapped_merge_sort_block_sort_configINS1_28merge_sort_block_sort_configILj256ELj4ELNS0_20block_sort_algorithmE0EEEmN2at4cuda3cub6detail10OpaqueTypeILi8EEEEENS1_37wrapped_merge_sort_block_merge_configINS0_14default_configEmSC_EEEEvv.uses_vcc, 0
	.set _ZN7rocprim17ROCPRIM_304000_NS6detail39device_merge_sort_compile_time_verifierINS1_36wrapped_merge_sort_block_sort_configINS1_28merge_sort_block_sort_configILj256ELj4ELNS0_20block_sort_algorithmE0EEEmN2at4cuda3cub6detail10OpaqueTypeILi8EEEEENS1_37wrapped_merge_sort_block_merge_configINS0_14default_configEmSC_EEEEvv.uses_flat_scratch, 0
	.set _ZN7rocprim17ROCPRIM_304000_NS6detail39device_merge_sort_compile_time_verifierINS1_36wrapped_merge_sort_block_sort_configINS1_28merge_sort_block_sort_configILj256ELj4ELNS0_20block_sort_algorithmE0EEEmN2at4cuda3cub6detail10OpaqueTypeILi8EEEEENS1_37wrapped_merge_sort_block_merge_configINS0_14default_configEmSC_EEEEvv.has_dyn_sized_stack, 0
	.set _ZN7rocprim17ROCPRIM_304000_NS6detail39device_merge_sort_compile_time_verifierINS1_36wrapped_merge_sort_block_sort_configINS1_28merge_sort_block_sort_configILj256ELj4ELNS0_20block_sort_algorithmE0EEEmN2at4cuda3cub6detail10OpaqueTypeILi8EEEEENS1_37wrapped_merge_sort_block_merge_configINS0_14default_configEmSC_EEEEvv.has_recursion, 0
	.set _ZN7rocprim17ROCPRIM_304000_NS6detail39device_merge_sort_compile_time_verifierINS1_36wrapped_merge_sort_block_sort_configINS1_28merge_sort_block_sort_configILj256ELj4ELNS0_20block_sort_algorithmE0EEEmN2at4cuda3cub6detail10OpaqueTypeILi8EEEEENS1_37wrapped_merge_sort_block_merge_configINS0_14default_configEmSC_EEEEvv.has_indirect_call, 0
	.section	.AMDGPU.csdata,"",@progbits
; Kernel info:
; codeLenInByte = 4
; TotalNumSgprs: 4
; NumVgprs: 0
; ScratchSize: 0
; MemoryBound: 0
; FloatMode: 240
; IeeeMode: 1
; LDSByteSize: 0 bytes/workgroup (compile time only)
; SGPRBlocks: 0
; VGPRBlocks: 0
; NumSGPRsForWavesPerEU: 4
; NumVGPRsForWavesPerEU: 1
; Occupancy: 10
; WaveLimiterHint : 0
; COMPUTE_PGM_RSRC2:SCRATCH_EN: 0
; COMPUTE_PGM_RSRC2:USER_SGPR: 4
; COMPUTE_PGM_RSRC2:TRAP_HANDLER: 0
; COMPUTE_PGM_RSRC2:TGID_X_EN: 1
; COMPUTE_PGM_RSRC2:TGID_Y_EN: 0
; COMPUTE_PGM_RSRC2:TGID_Z_EN: 0
; COMPUTE_PGM_RSRC2:TIDIG_COMP_CNT: 0
	.section	.text._ZN7rocprim17ROCPRIM_304000_NS6detail45device_block_merge_mergepath_partition_kernelINS1_37wrapped_merge_sort_block_merge_configINS0_14default_configEmN2at4cuda3cub6detail10OpaqueTypeILi8EEEEEPmjNS1_19radix_merge_compareILb1ELb0EmNS0_19identity_decomposerEEEEEvT0_T1_jPSH_T2_SH_,"axG",@progbits,_ZN7rocprim17ROCPRIM_304000_NS6detail45device_block_merge_mergepath_partition_kernelINS1_37wrapped_merge_sort_block_merge_configINS0_14default_configEmN2at4cuda3cub6detail10OpaqueTypeILi8EEEEEPmjNS1_19radix_merge_compareILb1ELb0EmNS0_19identity_decomposerEEEEEvT0_T1_jPSH_T2_SH_,comdat
	.protected	_ZN7rocprim17ROCPRIM_304000_NS6detail45device_block_merge_mergepath_partition_kernelINS1_37wrapped_merge_sort_block_merge_configINS0_14default_configEmN2at4cuda3cub6detail10OpaqueTypeILi8EEEEEPmjNS1_19radix_merge_compareILb1ELb0EmNS0_19identity_decomposerEEEEEvT0_T1_jPSH_T2_SH_ ; -- Begin function _ZN7rocprim17ROCPRIM_304000_NS6detail45device_block_merge_mergepath_partition_kernelINS1_37wrapped_merge_sort_block_merge_configINS0_14default_configEmN2at4cuda3cub6detail10OpaqueTypeILi8EEEEEPmjNS1_19radix_merge_compareILb1ELb0EmNS0_19identity_decomposerEEEEEvT0_T1_jPSH_T2_SH_
	.globl	_ZN7rocprim17ROCPRIM_304000_NS6detail45device_block_merge_mergepath_partition_kernelINS1_37wrapped_merge_sort_block_merge_configINS0_14default_configEmN2at4cuda3cub6detail10OpaqueTypeILi8EEEEEPmjNS1_19radix_merge_compareILb1ELb0EmNS0_19identity_decomposerEEEEEvT0_T1_jPSH_T2_SH_
	.p2align	8
	.type	_ZN7rocprim17ROCPRIM_304000_NS6detail45device_block_merge_mergepath_partition_kernelINS1_37wrapped_merge_sort_block_merge_configINS0_14default_configEmN2at4cuda3cub6detail10OpaqueTypeILi8EEEEEPmjNS1_19radix_merge_compareILb1ELb0EmNS0_19identity_decomposerEEEEEvT0_T1_jPSH_T2_SH_,@function
_ZN7rocprim17ROCPRIM_304000_NS6detail45device_block_merge_mergepath_partition_kernelINS1_37wrapped_merge_sort_block_merge_configINS0_14default_configEmN2at4cuda3cub6detail10OpaqueTypeILi8EEEEEPmjNS1_19radix_merge_compareILb1ELb0EmNS0_19identity_decomposerEEEEEvT0_T1_jPSH_T2_SH_: ; @_ZN7rocprim17ROCPRIM_304000_NS6detail45device_block_merge_mergepath_partition_kernelINS1_37wrapped_merge_sort_block_merge_configINS0_14default_configEmN2at4cuda3cub6detail10OpaqueTypeILi8EEEEEPmjNS1_19radix_merge_compareILb1ELb0EmNS0_19identity_decomposerEEEEEvT0_T1_jPSH_T2_SH_
; %bb.0:
	s_load_dwordx2 s[0:1], s[4:5], 0x8
	v_lshl_or_b32 v0, s6, 7, v0
	s_waitcnt lgkmcnt(0)
	v_cmp_gt_u32_e32 vcc, s1, v0
	s_and_saveexec_b64 s[2:3], vcc
	s_cbranch_execz .LBB2_6
; %bb.1:
	s_load_dword s1, s[4:5], 0x1c
	s_waitcnt lgkmcnt(0)
	s_lshr_b32 s2, s1, 9
	s_and_b32 s2, s2, 0x7ffffe
	s_add_i32 s3, s2, -1
	s_sub_i32 s2, 0, s2
	v_and_b32_e32 v1, s2, v0
	v_lshlrev_b32_e32 v3, 10, v1
	v_min_u32_e32 v1, s0, v3
	v_add_u32_e32 v3, s1, v3
	v_min_u32_e32 v3, s0, v3
	v_add_u32_e32 v4, s1, v3
	v_and_b32_e32 v2, s3, v0
	v_min_u32_e32 v4, s0, v4
	v_lshlrev_b32_e32 v2, 10, v2
	v_sub_u32_e32 v5, v4, v1
	v_min_u32_e32 v6, v5, v2
	v_sub_u32_e32 v2, v3, v1
	v_sub_u32_e32 v4, v4, v3
	v_sub_u32_e64 v5, v6, v4 clamp
	v_min_u32_e32 v7, v6, v2
	v_cmp_lt_u32_e32 vcc, v5, v7
	s_and_saveexec_b64 s[0:1], vcc
	s_cbranch_execz .LBB2_5
; %bb.2:
	s_load_dwordx2 s[2:3], s[4:5], 0x0
	v_mov_b32_e32 v4, 0
	v_mov_b32_e32 v2, v4
	v_lshlrev_b64 v[8:9], 3, v[1:2]
	s_waitcnt lgkmcnt(0)
	v_mov_b32_e32 v11, s3
	v_add_co_u32_e32 v2, vcc, s2, v8
	v_addc_co_u32_e32 v8, vcc, v11, v9, vcc
	v_lshlrev_b64 v[9:10], 3, v[3:4]
	v_add_co_u32_e32 v9, vcc, s2, v9
	v_addc_co_u32_e32 v10, vcc, v11, v10, vcc
	s_mov_b64 s[2:3], 0
.LBB2_3:                                ; =>This Inner Loop Header: Depth=1
	v_add_u32_e32 v3, v7, v5
	v_lshrrev_b32_e32 v3, 1, v3
	v_lshlrev_b64 v[13:14], 3, v[3:4]
	v_mov_b32_e32 v12, v4
	v_xad_u32 v11, v3, -1, v6
	v_lshlrev_b64 v[11:12], 3, v[11:12]
	v_add_co_u32_e32 v13, vcc, v2, v13
	v_addc_co_u32_e32 v14, vcc, v8, v14, vcc
	v_add_co_u32_e32 v11, vcc, v9, v11
	v_addc_co_u32_e32 v12, vcc, v10, v12, vcc
	global_load_dwordx2 v[15:16], v[13:14], off
	global_load_dwordx2 v[17:18], v[11:12], off
	v_add_u32_e32 v11, 1, v3
	s_waitcnt vmcnt(0)
	v_cmp_gt_u64_e32 vcc, v[17:18], v[15:16]
	v_cndmask_b32_e32 v7, v7, v3, vcc
	v_cndmask_b32_e32 v5, v11, v5, vcc
	v_cmp_ge_u32_e32 vcc, v5, v7
	s_or_b64 s[2:3], vcc, s[2:3]
	s_andn2_b64 exec, exec, s[2:3]
	s_cbranch_execnz .LBB2_3
; %bb.4:
	s_or_b64 exec, exec, s[2:3]
.LBB2_5:
	s_or_b64 exec, exec, s[0:1]
	s_load_dwordx2 s[0:1], s[4:5], 0x10
	v_add_u32_e32 v2, v5, v1
	v_mov_b32_e32 v1, 0
	v_lshlrev_b64 v[0:1], 2, v[0:1]
	s_waitcnt lgkmcnt(0)
	v_mov_b32_e32 v3, s1
	v_add_co_u32_e32 v0, vcc, s0, v0
	v_addc_co_u32_e32 v1, vcc, v3, v1, vcc
	global_store_dword v[0:1], v2, off
.LBB2_6:
	s_endpgm
	.section	.rodata,"a",@progbits
	.p2align	6, 0x0
	.amdhsa_kernel _ZN7rocprim17ROCPRIM_304000_NS6detail45device_block_merge_mergepath_partition_kernelINS1_37wrapped_merge_sort_block_merge_configINS0_14default_configEmN2at4cuda3cub6detail10OpaqueTypeILi8EEEEEPmjNS1_19radix_merge_compareILb1ELb0EmNS0_19identity_decomposerEEEEEvT0_T1_jPSH_T2_SH_
		.amdhsa_group_segment_fixed_size 0
		.amdhsa_private_segment_fixed_size 0
		.amdhsa_kernarg_size 32
		.amdhsa_user_sgpr_count 6
		.amdhsa_user_sgpr_private_segment_buffer 1
		.amdhsa_user_sgpr_dispatch_ptr 0
		.amdhsa_user_sgpr_queue_ptr 0
		.amdhsa_user_sgpr_kernarg_segment_ptr 1
		.amdhsa_user_sgpr_dispatch_id 0
		.amdhsa_user_sgpr_flat_scratch_init 0
		.amdhsa_user_sgpr_private_segment_size 0
		.amdhsa_uses_dynamic_stack 0
		.amdhsa_system_sgpr_private_segment_wavefront_offset 0
		.amdhsa_system_sgpr_workgroup_id_x 1
		.amdhsa_system_sgpr_workgroup_id_y 0
		.amdhsa_system_sgpr_workgroup_id_z 0
		.amdhsa_system_sgpr_workgroup_info 0
		.amdhsa_system_vgpr_workitem_id 0
		.amdhsa_next_free_vgpr 19
		.amdhsa_next_free_sgpr 7
		.amdhsa_reserve_vcc 1
		.amdhsa_reserve_flat_scratch 0
		.amdhsa_float_round_mode_32 0
		.amdhsa_float_round_mode_16_64 0
		.amdhsa_float_denorm_mode_32 3
		.amdhsa_float_denorm_mode_16_64 3
		.amdhsa_dx10_clamp 1
		.amdhsa_ieee_mode 1
		.amdhsa_fp16_overflow 0
		.amdhsa_exception_fp_ieee_invalid_op 0
		.amdhsa_exception_fp_denorm_src 0
		.amdhsa_exception_fp_ieee_div_zero 0
		.amdhsa_exception_fp_ieee_overflow 0
		.amdhsa_exception_fp_ieee_underflow 0
		.amdhsa_exception_fp_ieee_inexact 0
		.amdhsa_exception_int_div_zero 0
	.end_amdhsa_kernel
	.section	.text._ZN7rocprim17ROCPRIM_304000_NS6detail45device_block_merge_mergepath_partition_kernelINS1_37wrapped_merge_sort_block_merge_configINS0_14default_configEmN2at4cuda3cub6detail10OpaqueTypeILi8EEEEEPmjNS1_19radix_merge_compareILb1ELb0EmNS0_19identity_decomposerEEEEEvT0_T1_jPSH_T2_SH_,"axG",@progbits,_ZN7rocprim17ROCPRIM_304000_NS6detail45device_block_merge_mergepath_partition_kernelINS1_37wrapped_merge_sort_block_merge_configINS0_14default_configEmN2at4cuda3cub6detail10OpaqueTypeILi8EEEEEPmjNS1_19radix_merge_compareILb1ELb0EmNS0_19identity_decomposerEEEEEvT0_T1_jPSH_T2_SH_,comdat
.Lfunc_end2:
	.size	_ZN7rocprim17ROCPRIM_304000_NS6detail45device_block_merge_mergepath_partition_kernelINS1_37wrapped_merge_sort_block_merge_configINS0_14default_configEmN2at4cuda3cub6detail10OpaqueTypeILi8EEEEEPmjNS1_19radix_merge_compareILb1ELb0EmNS0_19identity_decomposerEEEEEvT0_T1_jPSH_T2_SH_, .Lfunc_end2-_ZN7rocprim17ROCPRIM_304000_NS6detail45device_block_merge_mergepath_partition_kernelINS1_37wrapped_merge_sort_block_merge_configINS0_14default_configEmN2at4cuda3cub6detail10OpaqueTypeILi8EEEEEPmjNS1_19radix_merge_compareILb1ELb0EmNS0_19identity_decomposerEEEEEvT0_T1_jPSH_T2_SH_
                                        ; -- End function
	.set _ZN7rocprim17ROCPRIM_304000_NS6detail45device_block_merge_mergepath_partition_kernelINS1_37wrapped_merge_sort_block_merge_configINS0_14default_configEmN2at4cuda3cub6detail10OpaqueTypeILi8EEEEEPmjNS1_19radix_merge_compareILb1ELb0EmNS0_19identity_decomposerEEEEEvT0_T1_jPSH_T2_SH_.num_vgpr, 19
	.set _ZN7rocprim17ROCPRIM_304000_NS6detail45device_block_merge_mergepath_partition_kernelINS1_37wrapped_merge_sort_block_merge_configINS0_14default_configEmN2at4cuda3cub6detail10OpaqueTypeILi8EEEEEPmjNS1_19radix_merge_compareILb1ELb0EmNS0_19identity_decomposerEEEEEvT0_T1_jPSH_T2_SH_.num_agpr, 0
	.set _ZN7rocprim17ROCPRIM_304000_NS6detail45device_block_merge_mergepath_partition_kernelINS1_37wrapped_merge_sort_block_merge_configINS0_14default_configEmN2at4cuda3cub6detail10OpaqueTypeILi8EEEEEPmjNS1_19radix_merge_compareILb1ELb0EmNS0_19identity_decomposerEEEEEvT0_T1_jPSH_T2_SH_.numbered_sgpr, 7
	.set _ZN7rocprim17ROCPRIM_304000_NS6detail45device_block_merge_mergepath_partition_kernelINS1_37wrapped_merge_sort_block_merge_configINS0_14default_configEmN2at4cuda3cub6detail10OpaqueTypeILi8EEEEEPmjNS1_19radix_merge_compareILb1ELb0EmNS0_19identity_decomposerEEEEEvT0_T1_jPSH_T2_SH_.num_named_barrier, 0
	.set _ZN7rocprim17ROCPRIM_304000_NS6detail45device_block_merge_mergepath_partition_kernelINS1_37wrapped_merge_sort_block_merge_configINS0_14default_configEmN2at4cuda3cub6detail10OpaqueTypeILi8EEEEEPmjNS1_19radix_merge_compareILb1ELb0EmNS0_19identity_decomposerEEEEEvT0_T1_jPSH_T2_SH_.private_seg_size, 0
	.set _ZN7rocprim17ROCPRIM_304000_NS6detail45device_block_merge_mergepath_partition_kernelINS1_37wrapped_merge_sort_block_merge_configINS0_14default_configEmN2at4cuda3cub6detail10OpaqueTypeILi8EEEEEPmjNS1_19radix_merge_compareILb1ELb0EmNS0_19identity_decomposerEEEEEvT0_T1_jPSH_T2_SH_.uses_vcc, 1
	.set _ZN7rocprim17ROCPRIM_304000_NS6detail45device_block_merge_mergepath_partition_kernelINS1_37wrapped_merge_sort_block_merge_configINS0_14default_configEmN2at4cuda3cub6detail10OpaqueTypeILi8EEEEEPmjNS1_19radix_merge_compareILb1ELb0EmNS0_19identity_decomposerEEEEEvT0_T1_jPSH_T2_SH_.uses_flat_scratch, 0
	.set _ZN7rocprim17ROCPRIM_304000_NS6detail45device_block_merge_mergepath_partition_kernelINS1_37wrapped_merge_sort_block_merge_configINS0_14default_configEmN2at4cuda3cub6detail10OpaqueTypeILi8EEEEEPmjNS1_19radix_merge_compareILb1ELb0EmNS0_19identity_decomposerEEEEEvT0_T1_jPSH_T2_SH_.has_dyn_sized_stack, 0
	.set _ZN7rocprim17ROCPRIM_304000_NS6detail45device_block_merge_mergepath_partition_kernelINS1_37wrapped_merge_sort_block_merge_configINS0_14default_configEmN2at4cuda3cub6detail10OpaqueTypeILi8EEEEEPmjNS1_19radix_merge_compareILb1ELb0EmNS0_19identity_decomposerEEEEEvT0_T1_jPSH_T2_SH_.has_recursion, 0
	.set _ZN7rocprim17ROCPRIM_304000_NS6detail45device_block_merge_mergepath_partition_kernelINS1_37wrapped_merge_sort_block_merge_configINS0_14default_configEmN2at4cuda3cub6detail10OpaqueTypeILi8EEEEEPmjNS1_19radix_merge_compareILb1ELb0EmNS0_19identity_decomposerEEEEEvT0_T1_jPSH_T2_SH_.has_indirect_call, 0
	.section	.AMDGPU.csdata,"",@progbits
; Kernel info:
; codeLenInByte = 364
; TotalNumSgprs: 11
; NumVgprs: 19
; ScratchSize: 0
; MemoryBound: 0
; FloatMode: 240
; IeeeMode: 1
; LDSByteSize: 0 bytes/workgroup (compile time only)
; SGPRBlocks: 1
; VGPRBlocks: 4
; NumSGPRsForWavesPerEU: 11
; NumVGPRsForWavesPerEU: 19
; Occupancy: 10
; WaveLimiterHint : 0
; COMPUTE_PGM_RSRC2:SCRATCH_EN: 0
; COMPUTE_PGM_RSRC2:USER_SGPR: 6
; COMPUTE_PGM_RSRC2:TRAP_HANDLER: 0
; COMPUTE_PGM_RSRC2:TGID_X_EN: 1
; COMPUTE_PGM_RSRC2:TGID_Y_EN: 0
; COMPUTE_PGM_RSRC2:TGID_Z_EN: 0
; COMPUTE_PGM_RSRC2:TIDIG_COMP_CNT: 0
	.section	.text._ZN7rocprim17ROCPRIM_304000_NS6detail35device_block_merge_mergepath_kernelINS1_37wrapped_merge_sort_block_merge_configINS0_14default_configEmN2at4cuda3cub6detail10OpaqueTypeILi8EEEEEPmSC_PSA_SD_jNS1_19radix_merge_compareILb1ELb0EmNS0_19identity_decomposerEEEEEvT0_T1_T2_T3_T4_SL_jT5_PKSL_NS1_7vsmem_tE,"axG",@progbits,_ZN7rocprim17ROCPRIM_304000_NS6detail35device_block_merge_mergepath_kernelINS1_37wrapped_merge_sort_block_merge_configINS0_14default_configEmN2at4cuda3cub6detail10OpaqueTypeILi8EEEEEPmSC_PSA_SD_jNS1_19radix_merge_compareILb1ELb0EmNS0_19identity_decomposerEEEEEvT0_T1_T2_T3_T4_SL_jT5_PKSL_NS1_7vsmem_tE,comdat
	.protected	_ZN7rocprim17ROCPRIM_304000_NS6detail35device_block_merge_mergepath_kernelINS1_37wrapped_merge_sort_block_merge_configINS0_14default_configEmN2at4cuda3cub6detail10OpaqueTypeILi8EEEEEPmSC_PSA_SD_jNS1_19radix_merge_compareILb1ELb0EmNS0_19identity_decomposerEEEEEvT0_T1_T2_T3_T4_SL_jT5_PKSL_NS1_7vsmem_tE ; -- Begin function _ZN7rocprim17ROCPRIM_304000_NS6detail35device_block_merge_mergepath_kernelINS1_37wrapped_merge_sort_block_merge_configINS0_14default_configEmN2at4cuda3cub6detail10OpaqueTypeILi8EEEEEPmSC_PSA_SD_jNS1_19radix_merge_compareILb1ELb0EmNS0_19identity_decomposerEEEEEvT0_T1_T2_T3_T4_SL_jT5_PKSL_NS1_7vsmem_tE
	.globl	_ZN7rocprim17ROCPRIM_304000_NS6detail35device_block_merge_mergepath_kernelINS1_37wrapped_merge_sort_block_merge_configINS0_14default_configEmN2at4cuda3cub6detail10OpaqueTypeILi8EEEEEPmSC_PSA_SD_jNS1_19radix_merge_compareILb1ELb0EmNS0_19identity_decomposerEEEEEvT0_T1_T2_T3_T4_SL_jT5_PKSL_NS1_7vsmem_tE
	.p2align	8
	.type	_ZN7rocprim17ROCPRIM_304000_NS6detail35device_block_merge_mergepath_kernelINS1_37wrapped_merge_sort_block_merge_configINS0_14default_configEmN2at4cuda3cub6detail10OpaqueTypeILi8EEEEEPmSC_PSA_SD_jNS1_19radix_merge_compareILb1ELb0EmNS0_19identity_decomposerEEEEEvT0_T1_T2_T3_T4_SL_jT5_PKSL_NS1_7vsmem_tE,@function
_ZN7rocprim17ROCPRIM_304000_NS6detail35device_block_merge_mergepath_kernelINS1_37wrapped_merge_sort_block_merge_configINS0_14default_configEmN2at4cuda3cub6detail10OpaqueTypeILi8EEEEEPmSC_PSA_SD_jNS1_19radix_merge_compareILb1ELb0EmNS0_19identity_decomposerEEEEEvT0_T1_T2_T3_T4_SL_jT5_PKSL_NS1_7vsmem_tE: ; @_ZN7rocprim17ROCPRIM_304000_NS6detail35device_block_merge_mergepath_kernelINS1_37wrapped_merge_sort_block_merge_configINS0_14default_configEmN2at4cuda3cub6detail10OpaqueTypeILi8EEEEEPmSC_PSA_SD_jNS1_19radix_merge_compareILb1ELb0EmNS0_19identity_decomposerEEEEEvT0_T1_T2_T3_T4_SL_jT5_PKSL_NS1_7vsmem_tE
; %bb.0:
	s_load_dwordx2 s[30:31], s[4:5], 0x40
	s_load_dwordx4 s[16:19], s[4:5], 0x20
	s_add_u32 s2, s4, 64
	s_addc_u32 s3, s5, 0
	s_waitcnt lgkmcnt(0)
	s_mul_i32 s0, s31, s8
	s_add_i32 s0, s0, s7
	s_mul_i32 s0, s0, s30
	s_add_i32 s0, s0, s6
	s_cmp_ge_u32 s0, s18
	s_cbranch_scc1 .LBB3_103
; %bb.1:
	s_load_dwordx8 s[8:15], s[4:5], 0x0
	s_load_dwordx2 s[18:19], s[4:5], 0x30
	s_lshr_b32 s31, s16, 10
	s_cmp_lg_u32 s0, s31
	s_mov_b32 s1, 0
	s_cselect_b64 s[20:21], -1, 0
	s_lshl_b64 s[4:5], s[0:1], 2
	s_waitcnt lgkmcnt(0)
	s_add_u32 s4, s18, s4
	s_addc_u32 s5, s19, s5
	s_load_dwordx2 s[22:23], s[4:5], 0x0
	s_lshr_b32 s4, s17, 9
	s_and_b32 s4, s4, 0x7ffffe
	s_sub_i32 s4, 0, s4
	s_and_b32 s5, s0, s4
	s_lshl_b32 s7, s5, 10
	s_lshl_b32 s18, s0, 10
	;; [unrolled: 1-line block ×3, first 2 shown]
	s_sub_i32 s19, s18, s7
	s_add_i32 s5, s5, s17
	s_add_i32 s19, s5, s19
	s_waitcnt lgkmcnt(0)
	s_sub_i32 s24, s19, s22
	s_sub_i32 s19, s19, s23
	;; [unrolled: 1-line block ×3, first 2 shown]
	s_min_u32 s24, s16, s24
	s_addk_i32 s19, 0x400
	s_or_b32 s4, s0, s4
	s_min_u32 s7, s16, s5
	s_add_i32 s5, s5, s17
	s_cmp_eq_u32 s4, -1
	s_cselect_b32 s4, s5, s19
	s_cselect_b32 s5, s7, s23
	s_min_u32 s4, s4, s16
	s_mov_b32 s23, s1
	s_sub_i32 s19, s5, s22
	s_sub_i32 s33, s4, s24
	s_lshl_b64 s[26:27], s[22:23], 3
	s_add_u32 s5, s8, s26
	s_mov_b32 s25, s1
	s_addc_u32 s7, s9, s27
	s_lshl_b64 s[28:29], s[24:25], 3
	s_add_u32 s4, s8, s28
	v_mov_b32_e32 v19, 0
	global_load_dword v1, v19, s[2:3] offset:14
	s_addc_u32 s8, s9, s29
	s_cmp_lt_u32 s6, s30
	s_cselect_b32 s1, 12, 18
	s_add_u32 s2, s2, s1
	s_addc_u32 s3, s3, 0
	global_load_ushort v2, v19, s[2:3]
	s_cmp_eq_u32 s0, s31
	v_cmp_gt_u32_e32 vcc, s19, v0
	v_lshlrev_b32_e32 v21, 3, v0
	s_waitcnt vmcnt(1)
	v_lshrrev_b32_e32 v3, 16, v1
	v_and_b32_e32 v1, 0xffff, v1
	v_mul_lo_u32 v1, v1, v3
	s_waitcnt vmcnt(0)
	v_mul_lo_u32 v20, v1, v2
	v_add_u32_e32 v18, v20, v0
	s_cbranch_scc1 .LBB3_3
; %bb.2:
	v_mov_b32_e32 v1, s7
	v_add_co_u32_e64 v3, s[0:1], s5, v21
	v_subrev_u32_e32 v2, s19, v0
	v_addc_co_u32_e64 v1, s[0:1], 0, v1, s[0:1]
	v_lshlrev_b32_e32 v2, 3, v2
	v_mov_b32_e32 v4, s8
	v_add_co_u32_e64 v5, s[0:1], s4, v2
	v_addc_co_u32_e64 v2, s[0:1], 0, v4, s[0:1]
	v_cndmask_b32_e32 v2, v2, v1, vcc
	v_cndmask_b32_e32 v1, v5, v3, vcc
	v_lshlrev_b64 v[3:4], 3, v[18:19]
	v_mov_b32_e32 v5, s7
	v_add_co_u32_e32 v6, vcc, s5, v3
	v_addc_co_u32_e32 v5, vcc, v5, v4, vcc
	v_subrev_co_u32_e32 v3, vcc, s19, v18
	v_mov_b32_e32 v4, v19
	v_lshlrev_b64 v[3:4], 3, v[3:4]
	v_mov_b32_e32 v7, s8
	v_add_co_u32_e64 v3, s[0:1], s4, v3
	v_addc_co_u32_e64 v4, s[0:1], v7, v4, s[0:1]
	v_add_u32_e32 v7, v18, v20
	v_mov_b32_e32 v8, v19
	v_cndmask_b32_e32 v4, v4, v5, vcc
	v_cndmask_b32_e32 v3, v3, v6, vcc
	v_lshlrev_b64 v[5:6], 3, v[7:8]
	v_mov_b32_e32 v8, s7
	v_add_co_u32_e32 v9, vcc, s5, v5
	v_addc_co_u32_e32 v8, vcc, v8, v6, vcc
	v_subrev_co_u32_e32 v5, vcc, s19, v7
	v_mov_b32_e32 v6, v19
	v_lshlrev_b64 v[5:6], 3, v[5:6]
	v_mov_b32_e32 v10, s8
	v_add_co_u32_e64 v5, s[0:1], s4, v5
	v_addc_co_u32_e64 v6, s[0:1], v10, v6, s[0:1]
	v_cndmask_b32_e32 v5, v5, v9, vcc
	v_add_u32_e32 v9, v7, v20
	v_mov_b32_e32 v10, v19
	v_cndmask_b32_e32 v6, v6, v8, vcc
	v_lshlrev_b64 v[7:8], 3, v[9:10]
	v_mov_b32_e32 v10, s7
	v_add_co_u32_e32 v11, vcc, s5, v7
	v_addc_co_u32_e32 v10, vcc, v10, v8, vcc
	v_subrev_co_u32_e32 v7, vcc, s19, v9
	v_mov_b32_e32 v8, v19
	v_lshlrev_b64 v[7:8], 3, v[7:8]
	v_mov_b32_e32 v12, s8
	v_add_co_u32_e64 v7, s[0:1], s4, v7
	v_addc_co_u32_e64 v8, s[0:1], v12, v8, s[0:1]
	v_cndmask_b32_e32 v7, v7, v11, vcc
	v_add_u32_e32 v11, v9, v20
	v_mov_b32_e32 v12, v19
	;; [unrolled: 14-line block ×5, first 2 shown]
	v_cndmask_b32_e32 v13, v13, v17, vcc
	v_lshlrev_b64 v[16:17], 3, v[15:16]
	v_mov_b32_e32 v22, s7
	v_add_co_u32_e32 v23, vcc, s5, v16
	v_addc_co_u32_e32 v17, vcc, v22, v17, vcc
	v_subrev_co_u32_e32 v15, vcc, s19, v15
	v_mov_b32_e32 v16, v19
	v_lshlrev_b64 v[15:16], 3, v[15:16]
	v_mov_b32_e32 v19, s8
	v_add_co_u32_e64 v15, s[0:1], s4, v15
	v_addc_co_u32_e64 v16, s[0:1], v19, v16, s[0:1]
	v_cndmask_b32_e32 v16, v16, v17, vcc
	v_cndmask_b32_e32 v15, v15, v23, vcc
	global_load_dwordx2 v[1:2], v[1:2], off
	s_add_i32 s17, s33, s19
	global_load_dwordx2 v[3:4], v[3:4], off
	s_nop 0
	global_load_dwordx2 v[5:6], v[5:6], off
	s_nop 0
	global_load_dwordx2 v[7:8], v[7:8], off
	s_nop 0
	global_load_dwordx2 v[9:10], v[9:10], off
	s_nop 0
	global_load_dwordx2 v[11:12], v[11:12], off
	s_nop 0
	global_load_dwordx2 v[13:14], v[13:14], off
	s_nop 0
	global_load_dwordx2 v[15:16], v[15:16], off
	s_cbranch_execz .LBB3_4
	s_branch .LBB3_21
.LBB3_3:
                                        ; implicit-def: $vgpr1_vgpr2_vgpr3_vgpr4_vgpr5_vgpr6_vgpr7_vgpr8_vgpr9_vgpr10_vgpr11_vgpr12_vgpr13_vgpr14_vgpr15_vgpr16
                                        ; implicit-def: $sgpr17
.LBB3_4:
	s_add_i32 s17, s33, s19
	s_waitcnt vmcnt(7)
	v_mov_b32_e32 v1, 0
	v_cmp_gt_u32_e32 vcc, s17, v0
	v_mov_b32_e32 v2, v1
	s_waitcnt vmcnt(6)
	v_mov_b32_e32 v3, v1
	v_mov_b32_e32 v4, v1
	s_waitcnt vmcnt(5)
	v_mov_b32_e32 v5, v1
	;; [unrolled: 3-line block ×7, first 2 shown]
	v_mov_b32_e32 v16, v1
	s_and_saveexec_b64 s[0:1], vcc
	s_cbranch_execz .LBB3_6
; %bb.5:
	v_mov_b32_e32 v2, s7
	v_add_co_u32_e32 v4, vcc, s5, v21
	v_subrev_u32_e32 v3, s19, v0
	v_addc_co_u32_e32 v2, vcc, 0, v2, vcc
	v_lshlrev_b32_e32 v3, 3, v3
	v_mov_b32_e32 v5, s8
	v_add_co_u32_e32 v6, vcc, s4, v3
	v_addc_co_u32_e32 v3, vcc, 0, v5, vcc
	v_cmp_gt_u32_e32 vcc, s19, v0
	v_cndmask_b32_e32 v3, v3, v2, vcc
	v_cndmask_b32_e32 v2, v6, v4, vcc
	global_load_dwordx2 v[2:3], v[2:3], off
	v_mov_b32_e32 v4, v1
	v_mov_b32_e32 v5, v1
	;; [unrolled: 1-line block ×14, first 2 shown]
	s_waitcnt vmcnt(0)
	v_mov_b32_e32 v1, v2
	v_mov_b32_e32 v2, v3
	v_mov_b32_e32 v3, v4
	v_mov_b32_e32 v4, v5
	v_mov_b32_e32 v5, v6
	v_mov_b32_e32 v6, v7
	v_mov_b32_e32 v7, v8
	v_mov_b32_e32 v8, v9
	v_mov_b32_e32 v9, v10
	v_mov_b32_e32 v10, v11
	v_mov_b32_e32 v11, v12
	v_mov_b32_e32 v12, v13
	v_mov_b32_e32 v13, v14
	v_mov_b32_e32 v14, v15
	v_mov_b32_e32 v15, v16
	v_mov_b32_e32 v16, v17
.LBB3_6:
	s_or_b64 exec, exec, s[0:1]
	v_cmp_gt_u32_e32 vcc, s17, v18
	s_and_saveexec_b64 s[2:3], vcc
	s_cbranch_execz .LBB3_8
; %bb.7:
	v_mov_b32_e32 v19, 0
	v_lshlrev_b64 v[3:4], 3, v[18:19]
	v_mov_b32_e32 v17, s7
	v_add_co_u32_e32 v22, vcc, s5, v3
	v_addc_co_u32_e32 v17, vcc, v17, v4, vcc
	v_subrev_co_u32_e32 v3, vcc, s19, v18
	v_mov_b32_e32 v4, v19
	v_lshlrev_b64 v[3:4], 3, v[3:4]
	v_mov_b32_e32 v19, s8
	v_add_co_u32_e64 v3, s[0:1], s4, v3
	v_addc_co_u32_e64 v4, s[0:1], v19, v4, s[0:1]
	v_cndmask_b32_e32 v4, v4, v17, vcc
	v_cndmask_b32_e32 v3, v3, v22, vcc
	global_load_dwordx2 v[3:4], v[3:4], off
.LBB3_8:
	s_or_b64 exec, exec, s[2:3]
	v_add_u32_e32 v17, v18, v20
	v_cmp_gt_u32_e32 vcc, s17, v17
	s_and_saveexec_b64 s[2:3], vcc
	s_cbranch_execz .LBB3_10
; %bb.9:
	v_mov_b32_e32 v18, 0
	v_lshlrev_b64 v[5:6], 3, v[17:18]
	v_mov_b32_e32 v19, s7
	v_add_co_u32_e32 v22, vcc, s5, v5
	v_addc_co_u32_e32 v19, vcc, v19, v6, vcc
	v_subrev_co_u32_e32 v5, vcc, s19, v17
	v_mov_b32_e32 v6, v18
	v_lshlrev_b64 v[5:6], 3, v[5:6]
	v_mov_b32_e32 v18, s8
	v_add_co_u32_e64 v5, s[0:1], s4, v5
	v_addc_co_u32_e64 v6, s[0:1], v18, v6, s[0:1]
	v_cndmask_b32_e32 v6, v6, v19, vcc
	v_cndmask_b32_e32 v5, v5, v22, vcc
	global_load_dwordx2 v[5:6], v[5:6], off
.LBB3_10:
	s_or_b64 exec, exec, s[2:3]
	v_add_u32_e32 v17, v17, v20
	;; [unrolled: 21-line block ×6, first 2 shown]
	v_cmp_gt_u32_e32 vcc, s17, v17
	s_and_saveexec_b64 s[2:3], vcc
	s_cbranch_execz .LBB3_20
; %bb.19:
	v_mov_b32_e32 v18, 0
	v_lshlrev_b64 v[15:16], 3, v[17:18]
	v_mov_b32_e32 v19, s7
	v_add_co_u32_e32 v20, vcc, s5, v15
	v_addc_co_u32_e32 v19, vcc, v19, v16, vcc
	v_subrev_co_u32_e32 v17, vcc, s19, v17
	v_lshlrev_b64 v[15:16], 3, v[17:18]
	v_mov_b32_e32 v17, s8
	v_add_co_u32_e64 v15, s[0:1], s4, v15
	v_addc_co_u32_e64 v16, s[0:1], v17, v16, s[0:1]
	v_cndmask_b32_e32 v16, v16, v19, vcc
	v_cndmask_b32_e32 v15, v15, v20, vcc
	global_load_dwordx2 v[15:16], v[15:16], off
.LBB3_20:
	s_or_b64 exec, exec, s[2:3]
.LBB3_21:
	v_min_u32_e32 v18, s17, v21
	v_sub_u32_e64 v17, v18, s33 clamp
	v_min_u32_e32 v19, s19, v18
	v_cmp_lt_u32_e32 vcc, v17, v19
	s_waitcnt vmcnt(0)
	ds_write2st64_b64 v21, v[1:2], v[3:4] offset1:2
	ds_write2st64_b64 v21, v[5:6], v[7:8] offset0:4 offset1:6
	ds_write2st64_b64 v21, v[9:10], v[11:12] offset0:8 offset1:10
	;; [unrolled: 1-line block ×3, first 2 shown]
	s_waitcnt lgkmcnt(0)
	s_barrier
	s_and_saveexec_b64 s[0:1], vcc
	s_cbranch_execz .LBB3_25
; %bb.22:
	v_lshlrev_b32_e32 v20, 3, v18
	v_lshl_add_u32 v20, s19, 3, v20
	s_mov_b64 s[2:3], 0
.LBB3_23:                               ; =>This Inner Loop Header: Depth=1
	v_add_u32_e32 v22, v19, v17
	v_lshrrev_b32_e32 v26, 1, v22
	v_not_b32_e32 v22, v26
	v_lshlrev_b32_e32 v23, 3, v26
	v_lshl_add_u32 v24, v22, 3, v20
	ds_read_b64 v[22:23], v23
	ds_read_b64 v[24:25], v24
	v_add_u32_e32 v27, 1, v26
	s_waitcnt lgkmcnt(0)
	v_cmp_gt_u64_e32 vcc, v[24:25], v[22:23]
	v_cndmask_b32_e32 v19, v19, v26, vcc
	v_cndmask_b32_e32 v17, v27, v17, vcc
	v_cmp_ge_u32_e32 vcc, v17, v19
	s_or_b64 s[2:3], vcc, s[2:3]
	s_andn2_b64 exec, exec, s[2:3]
	s_cbranch_execnz .LBB3_23
; %bb.24:
	s_or_b64 exec, exec, s[2:3]
.LBB3_25:
	s_or_b64 exec, exec, s[0:1]
	v_sub_u32_e32 v18, v18, v17
	v_add_u32_e32 v18, s19, v18
	v_cmp_ge_u32_e32 vcc, s19, v17
	v_cmp_ge_u32_e64 s[0:1], s17, v18
	s_or_b64 s[0:1], vcc, s[0:1]
	v_mov_b32_e32 v22, 0
	v_mov_b32_e32 v23, 0
	v_mov_b32_e32 v24, 0
	v_mov_b32_e32 v25, 0
	v_mov_b32_e32 v27, 0
	v_mov_b32_e32 v28, 0
	v_mov_b32_e32 v29, 0
	v_mov_b32_e32 v26, 0
	s_and_saveexec_b64 s[30:31], s[0:1]
	s_cbranch_execz .LBB3_31
; %bb.26:
	v_cmp_gt_u32_e32 vcc, s19, v17
                                        ; implicit-def: $vgpr1_vgpr2
	s_and_saveexec_b64 s[0:1], vcc
; %bb.27:
	v_lshlrev_b32_e32 v1, 3, v17
	ds_read_b64 v[1:2], v1
; %bb.28:
	s_or_b64 exec, exec, s[0:1]
	v_cmp_le_u32_e64 s[0:1], s17, v18
	v_cmp_gt_u32_e64 s[2:3], s17, v18
                                        ; implicit-def: $vgpr3_vgpr4
	s_and_saveexec_b64 s[4:5], s[2:3]
; %bb.29:
	v_lshlrev_b32_e32 v3, 3, v18
	ds_read_b64 v[3:4], v3
; %bb.30:
	s_or_b64 exec, exec, s[4:5]
	s_waitcnt lgkmcnt(0)
	v_cmp_le_u64_e64 s[2:3], v[3:4], v[1:2]
	v_mov_b32_e32 v26, s17
	s_and_b64 s[2:3], vcc, s[2:3]
	s_or_b64 vcc, s[0:1], s[2:3]
	v_mov_b32_e32 v34, s19
	v_cndmask_b32_e32 v22, v18, v17, vcc
	v_cndmask_b32_e32 v5, v26, v34, vcc
	v_add_u32_e32 v9, 1, v22
	v_add_u32_e32 v5, -1, v5
	v_min_u32_e32 v5, v9, v5
	v_lshlrev_b32_e32 v5, 3, v5
	ds_read_b64 v[5:6], v5
	v_cndmask_b32_e32 v14, v17, v9, vcc
	v_cndmask_b32_e32 v13, v9, v18, vcc
	v_cmp_gt_u32_e64 s[4:5], s19, v14
	v_cmp_le_u32_e64 s[0:1], s17, v13
	s_waitcnt lgkmcnt(0)
	v_cndmask_b32_e32 v8, v6, v4, vcc
	v_cndmask_b32_e32 v7, v5, v3, vcc
	;; [unrolled: 1-line block ×4, first 2 shown]
	v_cmp_le_u64_e64 s[2:3], v[7:8], v[5:6]
	v_cndmask_b32_e32 v2, v4, v2, vcc
	s_and_b64 s[2:3], s[4:5], s[2:3]
	s_or_b64 s[0:1], s[0:1], s[2:3]
	v_cndmask_b32_e64 v23, v13, v14, s[0:1]
	v_cndmask_b32_e64 v9, v26, v34, s[0:1]
	v_add_u32_e32 v15, 1, v23
	v_add_u32_e32 v9, -1, v9
	v_min_u32_e32 v9, v15, v9
	v_lshlrev_b32_e32 v9, 3, v9
	ds_read_b64 v[9:10], v9
	v_cndmask_b32_e64 v18, v14, v15, s[0:1]
	v_cndmask_b32_e64 v17, v15, v13, s[0:1]
	v_cmp_gt_u32_e64 s[6:7], s19, v18
	v_cmp_le_u32_e64 s[2:3], s17, v17
	s_waitcnt lgkmcnt(0)
	v_cndmask_b32_e64 v12, v10, v8, s[0:1]
	v_cndmask_b32_e64 v11, v9, v7, s[0:1]
	v_cndmask_b32_e64 v10, v6, v10, s[0:1]
	v_cndmask_b32_e64 v9, v5, v9, s[0:1]
	v_cmp_le_u64_e64 s[4:5], v[11:12], v[9:10]
	v_cndmask_b32_e32 v1, v3, v1, vcc
	s_and_b64 s[4:5], s[6:7], s[4:5]
	s_or_b64 s[2:3], s[2:3], s[4:5]
	v_cndmask_b32_e64 v24, v17, v18, s[2:3]
	v_cndmask_b32_e64 v13, v26, v34, s[2:3]
	v_add_u32_e32 v19, 1, v24
	v_add_u32_e32 v13, -1, v13
	v_min_u32_e32 v13, v19, v13
	v_lshlrev_b32_e32 v13, 3, v13
	ds_read_b64 v[13:14], v13
	v_cndmask_b32_e64 v28, v18, v19, s[2:3]
	v_cndmask_b32_e64 v27, v19, v17, s[2:3]
	v_cmp_gt_u32_e64 s[8:9], s19, v28
	v_cmp_le_u32_e64 s[4:5], s17, v27
	s_waitcnt lgkmcnt(0)
	v_cndmask_b32_e64 v16, v14, v12, s[2:3]
	v_cndmask_b32_e64 v15, v13, v11, s[2:3]
	;; [unrolled: 1-line block ×4, first 2 shown]
	v_cmp_le_u64_e64 s[6:7], v[15:16], v[13:14]
	v_cndmask_b32_e64 v4, v8, v6, s[0:1]
	s_and_b64 s[6:7], s[8:9], s[6:7]
	s_or_b64 s[4:5], s[4:5], s[6:7]
	v_cndmask_b32_e64 v25, v27, v28, s[4:5]
	v_cndmask_b32_e64 v17, v26, v34, s[4:5]
	v_add_u32_e32 v29, 1, v25
	v_add_u32_e32 v17, -1, v17
	v_min_u32_e32 v17, v29, v17
	v_lshlrev_b32_e32 v17, 3, v17
	ds_read_b64 v[17:18], v17
	v_cndmask_b32_e64 v33, v28, v29, s[4:5]
	v_cndmask_b32_e64 v32, v29, v27, s[4:5]
	v_cmp_gt_u32_e64 s[8:9], s19, v33
	v_cmp_le_u32_e32 vcc, s17, v32
	s_waitcnt lgkmcnt(0)
	v_cndmask_b32_e64 v20, v18, v16, s[4:5]
	v_cndmask_b32_e64 v19, v17, v15, s[4:5]
	;; [unrolled: 1-line block ×4, first 2 shown]
	v_cmp_le_u64_e64 s[6:7], v[19:20], v[17:18]
	v_cndmask_b32_e64 v6, v12, v10, s[2:3]
	s_and_b64 s[6:7], s[8:9], s[6:7]
	s_or_b64 vcc, vcc, s[6:7]
	v_cndmask_b32_e32 v27, v32, v33, vcc
	v_cndmask_b32_e32 v3, v26, v34, vcc
	v_add_u32_e32 v35, 1, v27
	v_add_u32_e32 v3, -1, v3
	v_min_u32_e32 v3, v35, v3
	v_lshlrev_b32_e32 v3, 3, v3
	ds_read_b64 v[28:29], v3
	v_cndmask_b32_e64 v3, v7, v5, s[0:1]
	v_cndmask_b32_e64 v5, v11, v9, s[2:3]
	;; [unrolled: 1-line block ×3, first 2 shown]
	v_cndmask_b32_e32 v10, v20, v18, vcc
	s_waitcnt lgkmcnt(0)
	v_cndmask_b32_e32 v12, v29, v20, vcc
	v_cndmask_b32_e32 v11, v28, v19, vcc
	;; [unrolled: 1-line block ×6, first 2 shown]
	v_cmp_le_u64_e64 s[2:3], v[11:12], v[30:31]
	v_cmp_gt_u32_e64 s[6:7], s19, v35
	v_cmp_le_u32_e64 s[0:1], s17, v29
	s_and_b64 s[2:3], s[6:7], s[2:3]
	s_or_b64 s[0:1], s[0:1], s[2:3]
	v_cndmask_b32_e64 v28, v29, v35, s[0:1]
	v_cndmask_b32_e64 v7, v26, v34, s[0:1]
	v_add_u32_e32 v36, 1, v28
	v_add_u32_e32 v7, -1, v7
	v_min_u32_e32 v7, v36, v7
	v_lshlrev_b32_e32 v7, 3, v7
	ds_read_b64 v[32:33], v7
	v_cndmask_b32_e64 v7, v15, v13, s[4:5]
	v_cndmask_b32_e32 v9, v19, v17, vcc
	s_waitcnt lgkmcnt(0)
	v_cndmask_b32_e64 v16, v33, v12, s[0:1]
	v_cndmask_b32_e64 v15, v32, v11, s[0:1]
	;; [unrolled: 1-line block ×5, first 2 shown]
	v_cmp_le_u64_e64 s[2:3], v[15:16], v[17:18]
	v_cndmask_b32_e64 v32, v36, v29, s[0:1]
	v_cmp_gt_u32_e64 s[4:5], s19, v33
	v_cmp_le_u32_e32 vcc, s17, v32
	s_and_b64 s[2:3], s[4:5], s[2:3]
	s_or_b64 vcc, vcc, s[2:3]
	v_cndmask_b32_e32 v29, v32, v33, vcc
	v_cndmask_b32_e32 v13, v26, v34, vcc
	v_add_u32_e32 v26, 1, v29
	v_add_u32_e32 v13, -1, v13
	v_min_u32_e32 v13, v26, v13
	v_lshlrev_b32_e32 v13, 3, v13
	ds_read_b64 v[19:20], v13
	v_cndmask_b32_e32 v14, v16, v18, vcc
	v_cndmask_b32_e32 v13, v15, v17, vcc
	v_cndmask_b32_e64 v12, v12, v31, s[0:1]
	v_cndmask_b32_e64 v11, v11, v30, s[0:1]
	s_waitcnt lgkmcnt(0)
	v_cndmask_b32_e32 v16, v20, v16, vcc
	v_cndmask_b32_e32 v15, v19, v15, vcc
	;; [unrolled: 1-line block ×5, first 2 shown]
	v_cmp_le_u64_e64 s[0:1], v[15:16], v[17:18]
	v_cndmask_b32_e32 v19, v26, v32, vcc
	v_cmp_gt_u32_e64 s[2:3], s19, v20
	v_cmp_le_u32_e32 vcc, s17, v19
	s_and_b64 s[0:1], s[2:3], s[0:1]
	s_or_b64 vcc, vcc, s[0:1]
	v_cndmask_b32_e32 v26, v19, v20, vcc
	v_cndmask_b32_e32 v16, v16, v18, vcc
	;; [unrolled: 1-line block ×3, first 2 shown]
.LBB3_31:
	s_or_b64 exec, exec, s[30:31]
	s_add_u32 s8, s12, s26
	s_addc_u32 s9, s13, s27
	s_add_u32 s6, s12, s28
	v_cndmask_b32_e64 v17, 0, 1, s[20:21]
	s_addc_u32 s7, s13, s29
	v_cmp_gt_u32_e64 s[4:5], s19, v0
	v_cmp_ne_u32_e64 s[0:1], 1, v17
	s_andn2_b64 vcc, exec, s[20:21]
	v_cmp_le_u32_e64 s[2:3], s19, v0
	s_barrier
	s_cbranch_vccnz .LBB3_33
; %bb.32:
	v_subrev_u32_e32 v17, s19, v0
	v_lshlrev_b32_e32 v17, 3, v17
	v_mov_b32_e32 v18, s7
	v_add_co_u32_e32 v17, vcc, s6, v17
	v_addc_co_u32_e32 v18, vcc, 0, v18, vcc
	v_mov_b32_e32 v19, s9
	v_add_co_u32_e32 v20, vcc, s8, v21
	v_addc_co_u32_e32 v19, vcc, 0, v19, vcc
	v_cndmask_b32_e64 v18, v18, v19, s[4:5]
	v_or_b32_e32 v19, 0x80, v0
	v_cndmask_b32_e64 v17, v17, v20, s[4:5]
	v_subrev_u32_e32 v20, s19, v19
	v_min_u32_e32 v20, v19, v20
	v_cmp_gt_u32_e32 vcc, s19, v19
	v_mov_b32_e32 v42, s6
	v_mov_b32_e32 v43, s8
	;; [unrolled: 1-line block ×4, first 2 shown]
	v_cndmask_b32_e32 v19, v42, v43, vcc
	v_lshlrev_b32_e32 v20, 3, v20
	v_cndmask_b32_e32 v30, v40, v41, vcc
	v_add_co_u32_e32 v19, vcc, v19, v20
	v_addc_co_u32_e32 v20, vcc, 0, v30, vcc
	v_or_b32_e32 v30, 0x100, v0
	v_subrev_u32_e32 v31, s19, v30
	v_min_u32_e32 v31, v30, v31
	v_cmp_gt_u32_e32 vcc, s19, v30
	v_cndmask_b32_e32 v30, v42, v43, vcc
	v_lshlrev_b32_e32 v31, 3, v31
	v_cndmask_b32_e32 v32, v40, v41, vcc
	v_add_co_u32_e32 v30, vcc, v30, v31
	v_addc_co_u32_e32 v31, vcc, 0, v32, vcc
	v_or_b32_e32 v32, 0x180, v0
	v_subrev_u32_e32 v33, s19, v32
	v_min_u32_e32 v33, v32, v33
	v_cmp_gt_u32_e32 vcc, s19, v32
	;; [unrolled: 9-line block ×5, first 2 shown]
	global_load_dwordx2 v[17:18], v[17:18], off
	v_cndmask_b32_e32 v38, v42, v43, vcc
	global_load_dwordx2 v[19:20], v[19:20], off
	v_lshlrev_b32_e32 v39, 3, v39
	global_load_dwordx2 v[30:31], v[30:31], off
	v_cndmask_b32_e32 v44, v40, v41, vcc
	global_load_dwordx2 v[32:33], v[32:33], off
	v_add_co_u32_e32 v38, vcc, v38, v39
	global_load_dwordx2 v[34:35], v[34:35], off
	v_addc_co_u32_e32 v39, vcc, 0, v44, vcc
	global_load_dwordx2 v[36:37], v[36:37], off
	s_nop 0
	global_load_dwordx2 v[38:39], v[38:39], off
	s_mov_b64 s[4:5], -1
	s_waitcnt vmcnt(5)
	ds_write2st64_b64 v21, v[17:18], v[19:20] offset1:2
	s_waitcnt vmcnt(3)
	ds_write2st64_b64 v21, v[30:31], v[32:33] offset0:4 offset1:6
	s_waitcnt vmcnt(1)
	ds_write2st64_b64 v21, v[34:35], v[36:37] offset0:8 offset1:10
	s_waitcnt vmcnt(0)
	ds_write_b64 v21, v[38:39] offset:6144
	v_or_b32_e32 v30, 0x380, v0
	v_subrev_u32_e32 v17, s19, v30
	v_cmp_gt_u32_e32 vcc, s19, v30
	v_min_u32_e32 v19, v30, v17
	v_cndmask_b32_e32 v18, v40, v41, vcc
	v_cndmask_b32_e32 v17, v42, v43, vcc
	s_cbranch_execz .LBB3_34
	s_branch .LBB3_65
.LBB3_33:
	s_mov_b64 s[4:5], 0
                                        ; implicit-def: $vgpr30
                                        ; implicit-def: $vgpr17_vgpr18
                                        ; implicit-def: $vgpr19
.LBB3_34:
	s_mov_b64 s[4:5], 0
                                        ; implicit-def: $vgpr17_vgpr18
	s_and_saveexec_b64 s[26:27], s[2:3]
	s_xor_b64 s[2:3], exec, s[26:27]
	s_cbranch_execnz .LBB3_104
; %bb.35:
	s_andn2_saveexec_b64 s[2:3], s[2:3]
	s_cbranch_execnz .LBB3_107
.LBB3_36:
	s_or_b64 exec, exec, s[2:3]
	s_and_saveexec_b64 s[2:3], s[4:5]
	s_cbranch_execz .LBB3_38
.LBB3_37:
	global_load_dwordx2 v[17:18], v[17:18], off
	s_waitcnt vmcnt(0)
	ds_write_b64 v21, v[17:18]
.LBB3_38:
	s_or_b64 exec, exec, s[2:3]
	v_or_b32_e32 v19, 0x80, v0
	v_mov_b32_e32 v17, s22
	v_cmp_le_u32_e32 vcc, s19, v19
	s_mov_b64 s[2:3], -1
	v_mov_b32_e32 v18, s23
	s_and_saveexec_b64 s[4:5], vcc
; %bb.39:
	v_subrev_u32_e32 v19, s19, v19
	v_cmp_gt_u32_e32 vcc, s33, v19
	v_mov_b32_e32 v17, s24
	v_mov_b32_e32 v18, s25
	s_orn2_b64 s[2:3], vcc, exec
; %bb.40:
	s_or_b64 exec, exec, s[4:5]
	s_and_saveexec_b64 s[4:5], s[2:3]
	s_cbranch_execz .LBB3_42
; %bb.41:
	v_lshlrev_b64 v[17:18], 3, v[17:18]
	v_mov_b32_e32 v20, s13
	v_add_co_u32_e32 v17, vcc, s12, v17
	v_addc_co_u32_e32 v18, vcc, v20, v18, vcc
	v_lshlrev_b32_e32 v19, 3, v19
	v_add_co_u32_e32 v17, vcc, v17, v19
	v_addc_co_u32_e32 v18, vcc, 0, v18, vcc
	global_load_dwordx2 v[17:18], v[17:18], off
	s_waitcnt vmcnt(0)
	ds_write_b64 v21, v[17:18] offset:1024
.LBB3_42:
	s_or_b64 exec, exec, s[4:5]
	v_or_b32_e32 v19, 0x100, v0
	v_mov_b32_e32 v17, s22
	v_cmp_le_u32_e32 vcc, s19, v19
	s_mov_b64 s[2:3], -1
	v_mov_b32_e32 v18, s23
	s_and_saveexec_b64 s[4:5], vcc
; %bb.43:
	v_subrev_u32_e32 v19, s19, v19
	v_cmp_gt_u32_e32 vcc, s33, v19
	v_mov_b32_e32 v17, s24
	v_mov_b32_e32 v18, s25
	s_orn2_b64 s[2:3], vcc, exec
; %bb.44:
	s_or_b64 exec, exec, s[4:5]
	s_and_saveexec_b64 s[4:5], s[2:3]
	s_cbranch_execz .LBB3_46
; %bb.45:
	v_lshlrev_b64 v[17:18], 3, v[17:18]
	v_mov_b32_e32 v20, s13
	v_add_co_u32_e32 v17, vcc, s12, v17
	v_addc_co_u32_e32 v18, vcc, v20, v18, vcc
	v_lshlrev_b32_e32 v19, 3, v19
	v_add_co_u32_e32 v17, vcc, v17, v19
	v_addc_co_u32_e32 v18, vcc, 0, v18, vcc
	global_load_dwordx2 v[17:18], v[17:18], off
	s_waitcnt vmcnt(0)
	ds_write_b64 v21, v[17:18] offset:2048
.LBB3_46:
	;; [unrolled: 29-line block ×6, first 2 shown]
	s_or_b64 exec, exec, s[4:5]
	v_or_b32_e32 v30, 0x380, v0
	v_mov_b32_e32 v18, s9
	v_cmp_le_u32_e32 vcc, s19, v30
	s_mov_b64 s[4:5], -1
	v_mov_b32_e32 v17, s8
	v_mov_b32_e32 v19, v30
	s_and_saveexec_b64 s[2:3], vcc
; %bb.63:
	v_subrev_u32_e32 v19, s19, v30
	v_cmp_gt_u32_e32 vcc, s33, v19
	v_mov_b32_e32 v18, s7
	v_mov_b32_e32 v17, s6
	s_orn2_b64 s[4:5], vcc, exec
; %bb.64:
	s_or_b64 exec, exec, s[2:3]
.LBB3_65:
	s_and_saveexec_b64 s[2:3], s[4:5]
	s_cbranch_execz .LBB3_67
; %bb.66:
	v_mov_b32_e32 v20, 0
	v_lshlrev_b64 v[19:20], 3, v[19:20]
	v_add_co_u32_e32 v17, vcc, v17, v19
	v_addc_co_u32_e32 v18, vcc, v18, v20, vcc
	global_load_dwordx2 v[17:18], v[17:18], off
	v_lshlrev_b32_e32 v19, 3, v30
	s_waitcnt vmcnt(0)
	ds_write_b64 v19, v[17:18]
.LBB3_67:
	s_or_b64 exec, exec, s[2:3]
	s_and_b64 vcc, exec, s[0:1]
	v_add_u32_e32 v17, s18, v21
	s_waitcnt lgkmcnt(0)
	s_barrier
	s_cbranch_vccnz .LBB3_69
; %bb.68:
	v_lshlrev_b32_e32 v30, 3, v22
	v_lshlrev_b32_e32 v32, 3, v23
	;; [unrolled: 1-line block ×7, first 2 shown]
	v_mov_b32_e32 v18, 0
	ds_read_b64 v[30:31], v30
	ds_read_b64 v[32:33], v32
	;; [unrolled: 1-line block ×7, first 2 shown]
	v_lshlrev_b64 v[19:20], 3, v[17:18]
	v_mov_b32_e32 v44, s15
	v_add_co_u32_e32 v19, vcc, s14, v19
	v_addc_co_u32_e32 v20, vcc, v44, v20, vcc
	s_mov_b64 s[0:1], -1
	s_waitcnt lgkmcnt(5)
	global_store_dwordx4 v[19:20], v[30:33], off
	s_waitcnt lgkmcnt(3)
	global_store_dwordx4 v[19:20], v[34:37], off offset:16
	s_waitcnt lgkmcnt(1)
	global_store_dwordx4 v[19:20], v[38:41], off offset:32
	s_waitcnt lgkmcnt(0)
	global_store_dwordx2 v[19:20], v[42:43], off offset:48
	s_cbranch_execz .LBB3_70
	s_branch .LBB3_87
.LBB3_69:
	s_mov_b64 s[0:1], 0
.LBB3_70:
	v_cmp_gt_u32_e32 vcc, s17, v21
	s_and_saveexec_b64 s[2:3], vcc
	s_cbranch_execz .LBB3_72
; %bb.71:
	v_lshlrev_b32_e32 v22, 3, v22
	v_mov_b32_e32 v18, 0
	ds_read_b64 v[30:31], v22
	v_lshlrev_b64 v[18:19], 3, v[17:18]
	v_mov_b32_e32 v20, s15
	v_add_co_u32_e32 v18, vcc, s14, v18
	v_addc_co_u32_e32 v19, vcc, v20, v19, vcc
	s_waitcnt lgkmcnt(0)
	global_store_dwordx2 v[18:19], v[30:31], off
.LBB3_72:
	s_or_b64 exec, exec, s[2:3]
	v_or_b32_e32 v18, 1, v21
	v_cmp_gt_u32_e32 vcc, s17, v18
	s_and_saveexec_b64 s[2:3], vcc
	s_cbranch_execz .LBB3_74
; %bb.73:
	v_lshlrev_b32_e32 v22, 3, v23
	v_mov_b32_e32 v18, 0
	ds_read_b64 v[22:23], v22
	v_lshlrev_b64 v[18:19], 3, v[17:18]
	v_mov_b32_e32 v20, s15
	v_add_co_u32_e32 v18, vcc, s14, v18
	v_addc_co_u32_e32 v19, vcc, v20, v19, vcc
	s_waitcnt lgkmcnt(0)
	global_store_dwordx2 v[18:19], v[22:23], off offset:8
.LBB3_74:
	s_or_b64 exec, exec, s[2:3]
	v_or_b32_e32 v18, 2, v21
	v_cmp_gt_u32_e32 vcc, s17, v18
	s_and_saveexec_b64 s[2:3], vcc
	s_cbranch_execz .LBB3_76
; %bb.75:
	v_lshlrev_b32_e32 v22, 3, v24
	v_mov_b32_e32 v18, 0
	ds_read_b64 v[22:23], v22
	v_lshlrev_b64 v[18:19], 3, v[17:18]
	v_mov_b32_e32 v20, s15
	v_add_co_u32_e32 v18, vcc, s14, v18
	v_addc_co_u32_e32 v19, vcc, v20, v19, vcc
	s_waitcnt lgkmcnt(0)
	global_store_dwordx2 v[18:19], v[22:23], off offset:16
.LBB3_76:
	;; [unrolled: 16-line block ×6, first 2 shown]
	s_or_b64 exec, exec, s[2:3]
	v_or_b32_e32 v18, 7, v21
	v_cmp_gt_u32_e32 vcc, s17, v18
	s_and_saveexec_b64 s[2:3], vcc
; %bb.85:
	v_mov_b32_e32 v18, 0
	s_or_b64 s[0:1], s[0:1], exec
; %bb.86:
	s_or_b64 exec, exec, s[2:3]
.LBB3_87:
	s_and_saveexec_b64 s[2:3], s[0:1]
	s_cbranch_execz .LBB3_89
; %bb.88:
	v_lshlrev_b32_e32 v19, 3, v26
	ds_read_b64 v[19:20], v19
	v_lshlrev_b64 v[17:18], 3, v[17:18]
	v_mov_b32_e32 v22, s15
	v_add_co_u32_e32 v17, vcc, s14, v17
	v_addc_co_u32_e32 v18, vcc, v22, v18, vcc
	s_waitcnt lgkmcnt(0)
	global_store_dwordx2 v[17:18], v[19:20], off offset:56
.LBB3_89:
	s_or_b64 exec, exec, s[2:3]
	v_lshrrev_b32_e32 v17, 2, v0
	v_lshlrev_b32_e32 v18, 3, v21
	v_lshl_add_u32 v18, v17, 3, v18
	s_waitcnt vmcnt(0)
	s_barrier
	s_barrier
	ds_write2_b64 v18, v[1:2], v[3:4] offset1:1
	ds_write2_b64 v18, v[5:6], v[7:8] offset0:2 offset1:3
	ds_write2_b64 v18, v[9:10], v[11:12] offset0:4 offset1:5
	;; [unrolled: 1-line block ×3, first 2 shown]
	v_and_b32_e32 v1, 24, v17
	v_or_b32_e32 v24, 0x80, v0
	v_add_u32_e32 v25, v1, v21
	v_lshrrev_b32_e32 v1, 2, v24
	v_and_b32_e32 v1, 56, v1
	v_or_b32_e32 v23, 0x100, v0
	v_add_u32_e32 v5, v1, v21
	v_lshrrev_b32_e32 v1, 2, v23
	;; [unrolled: 4-line block ×5, first 2 shown]
	v_and_b32_e32 v1, 0xb8, v1
	v_or_b32_e32 v18, 0x300, v0
	s_mov_b32 s19, 0
	v_add_u32_e32 v26, v1, v21
	v_lshrrev_b32_e32 v1, 2, v18
	s_lshl_b64 s[0:1], s[18:19], 3
	v_and_b32_e32 v1, 0xd8, v1
	v_or_b32_e32 v17, 0x380, v0
	s_add_u32 s0, s10, s0
	v_add_u32_e32 v27, v1, v21
	v_lshrrev_b32_e32 v1, 2, v17
	s_addc_u32 s1, s11, s1
	v_and_b32_e32 v1, 0xf8, v1
	v_add_u32_e32 v28, v1, v21
	v_mov_b32_e32 v2, s1
	v_add_co_u32_e32 v1, vcc, s0, v21
	v_addc_co_u32_e32 v2, vcc, 0, v2, vcc
	s_and_b64 vcc, exec, s[20:21]
	s_waitcnt lgkmcnt(0)
	s_cbranch_vccz .LBB3_91
; %bb.90:
	s_barrier
	ds_read_b64 v[9:10], v25
	ds_read_b64 v[11:12], v5 offset:1024
	ds_read_b64 v[13:14], v6 offset:2048
	;; [unrolled: 1-line block ×7, first 2 shown]
	s_waitcnt lgkmcnt(7)
	global_store_dwordx2 v[1:2], v[9:10], off
	s_waitcnt lgkmcnt(6)
	global_store_dwordx2 v[1:2], v[11:12], off offset:1024
	s_waitcnt lgkmcnt(5)
	global_store_dwordx2 v[1:2], v[13:14], off offset:2048
	;; [unrolled: 2-line block ×3, first 2 shown]
	v_add_co_u32_e32 v9, vcc, 0x1000, v1
	v_addc_co_u32_e32 v10, vcc, 0, v2, vcc
	s_waitcnt lgkmcnt(3)
	global_store_dwordx2 v[9:10], v[29:30], off
	s_waitcnt lgkmcnt(2)
	global_store_dwordx2 v[9:10], v[31:32], off offset:1024
	s_waitcnt lgkmcnt(1)
	global_store_dwordx2 v[9:10], v[33:34], off offset:2048
	s_mov_b64 s[0:1], -1
	s_cbranch_execz .LBB3_92
	s_branch .LBB3_101
.LBB3_91:
	s_mov_b64 s[0:1], 0
                                        ; implicit-def: $vgpr3_vgpr4
.LBB3_92:
	s_waitcnt vmcnt(0) lgkmcnt(0)
	s_barrier
	ds_read_b64 v[15:16], v5 offset:1024
	ds_read_b64 v[13:14], v6 offset:2048
	;; [unrolled: 1-line block ×7, first 2 shown]
	s_sub_i32 s2, s16, s18
	v_cmp_gt_u32_e32 vcc, s2, v0
	s_and_saveexec_b64 s[0:1], vcc
	s_cbranch_execnz .LBB3_108
; %bb.93:
	s_or_b64 exec, exec, s[0:1]
	v_cmp_gt_u32_e32 vcc, s2, v24
	s_and_saveexec_b64 s[0:1], vcc
	s_cbranch_execnz .LBB3_109
.LBB3_94:
	s_or_b64 exec, exec, s[0:1]
	v_cmp_gt_u32_e32 vcc, s2, v23
	s_and_saveexec_b64 s[0:1], vcc
	s_cbranch_execnz .LBB3_110
.LBB3_95:
	s_or_b64 exec, exec, s[0:1]
	v_cmp_gt_u32_e32 vcc, s2, v22
	s_and_saveexec_b64 s[0:1], vcc
	s_cbranch_execnz .LBB3_111
.LBB3_96:
	s_or_b64 exec, exec, s[0:1]
	v_cmp_gt_u32_e32 vcc, s2, v20
	s_and_saveexec_b64 s[0:1], vcc
	s_cbranch_execnz .LBB3_112
.LBB3_97:
	s_or_b64 exec, exec, s[0:1]
	v_cmp_gt_u32_e32 vcc, s2, v19
	s_and_saveexec_b64 s[0:1], vcc
	s_cbranch_execnz .LBB3_113
.LBB3_98:
	s_or_b64 exec, exec, s[0:1]
	v_cmp_gt_u32_e32 vcc, s2, v18
	s_and_saveexec_b64 s[0:1], vcc
	s_cbranch_execz .LBB3_100
.LBB3_99:
	s_waitcnt lgkmcnt(2)
	v_add_co_u32_e32 v7, vcc, 0x1000, v1
	v_addc_co_u32_e32 v8, vcc, 0, v2, vcc
	s_waitcnt lgkmcnt(1)
	global_store_dwordx2 v[7:8], v[5:6], off offset:2048
.LBB3_100:
	s_or_b64 exec, exec, s[0:1]
	v_cmp_gt_u32_e64 s[0:1], s2, v17
.LBB3_101:
	s_and_saveexec_b64 s[2:3], s[0:1]
	s_cbranch_execz .LBB3_103
; %bb.102:
	v_add_co_u32_e32 v0, vcc, 0x1000, v1
	v_addc_co_u32_e32 v1, vcc, 0, v2, vcc
	s_waitcnt lgkmcnt(0)
	global_store_dwordx2 v[0:1], v[3:4], off offset:3072
.LBB3_103:
	s_endpgm
.LBB3_104:
	v_subrev_u32_e32 v19, s19, v0
	v_cmp_gt_u32_e32 vcc, s33, v19
                                        ; implicit-def: $vgpr17_vgpr18
	s_and_saveexec_b64 s[26:27], vcc
	s_xor_b64 s[26:27], exec, s[26:27]
; %bb.105:
	v_lshlrev_b32_e32 v17, 3, v19
	v_mov_b32_e32 v18, s7
	v_add_co_u32_e32 v17, vcc, s6, v17
	s_mov_b64 s[4:5], exec
	v_addc_co_u32_e32 v18, vcc, 0, v18, vcc
; %bb.106:
	s_or_b64 exec, exec, s[26:27]
	s_and_b64 s[4:5], s[4:5], exec
	s_andn2_saveexec_b64 s[2:3], s[2:3]
	s_cbranch_execz .LBB3_36
.LBB3_107:
	v_mov_b32_e32 v18, s9
	v_add_co_u32_e32 v17, vcc, s8, v21
	v_addc_co_u32_e32 v18, vcc, 0, v18, vcc
	s_or_b64 s[4:5], s[4:5], exec
	s_or_b64 exec, exec, s[2:3]
	s_and_saveexec_b64 s[2:3], s[4:5]
	s_cbranch_execnz .LBB3_37
	s_branch .LBB3_38
.LBB3_108:
	ds_read_b64 v[25:26], v25
	s_waitcnt lgkmcnt(0)
	global_store_dwordx2 v[1:2], v[25:26], off
	s_or_b64 exec, exec, s[0:1]
	v_cmp_gt_u32_e32 vcc, s2, v24
	s_and_saveexec_b64 s[0:1], vcc
	s_cbranch_execz .LBB3_94
.LBB3_109:
	s_waitcnt lgkmcnt(6)
	global_store_dwordx2 v[1:2], v[15:16], off offset:1024
	s_or_b64 exec, exec, s[0:1]
	v_cmp_gt_u32_e32 vcc, s2, v23
	s_and_saveexec_b64 s[0:1], vcc
	s_cbranch_execz .LBB3_95
.LBB3_110:
	s_waitcnt lgkmcnt(5)
	global_store_dwordx2 v[1:2], v[13:14], off offset:2048
	s_or_b64 exec, exec, s[0:1]
	v_cmp_gt_u32_e32 vcc, s2, v22
	s_and_saveexec_b64 s[0:1], vcc
	s_cbranch_execz .LBB3_96
.LBB3_111:
	s_waitcnt lgkmcnt(4)
	global_store_dwordx2 v[1:2], v[11:12], off offset:3072
	s_or_b64 exec, exec, s[0:1]
	v_cmp_gt_u32_e32 vcc, s2, v20
	s_and_saveexec_b64 s[0:1], vcc
	s_cbranch_execz .LBB3_97
.LBB3_112:
	s_waitcnt lgkmcnt(4)
	v_add_co_u32_e32 v11, vcc, 0x1000, v1
	v_addc_co_u32_e32 v12, vcc, 0, v2, vcc
	s_waitcnt lgkmcnt(3)
	global_store_dwordx2 v[11:12], v[9:10], off
	s_or_b64 exec, exec, s[0:1]
	v_cmp_gt_u32_e32 vcc, s2, v19
	s_and_saveexec_b64 s[0:1], vcc
	s_cbranch_execz .LBB3_98
.LBB3_113:
	s_waitcnt lgkmcnt(3)
	v_add_co_u32_e32 v9, vcc, 0x1000, v1
	v_addc_co_u32_e32 v10, vcc, 0, v2, vcc
	s_waitcnt lgkmcnt(2)
	global_store_dwordx2 v[9:10], v[7:8], off offset:1024
	s_or_b64 exec, exec, s[0:1]
	v_cmp_gt_u32_e32 vcc, s2, v18
	s_and_saveexec_b64 s[0:1], vcc
	s_cbranch_execnz .LBB3_99
	s_branch .LBB3_100
	.section	.rodata,"a",@progbits
	.p2align	6, 0x0
	.amdhsa_kernel _ZN7rocprim17ROCPRIM_304000_NS6detail35device_block_merge_mergepath_kernelINS1_37wrapped_merge_sort_block_merge_configINS0_14default_configEmN2at4cuda3cub6detail10OpaqueTypeILi8EEEEEPmSC_PSA_SD_jNS1_19radix_merge_compareILb1ELb0EmNS0_19identity_decomposerEEEEEvT0_T1_T2_T3_T4_SL_jT5_PKSL_NS1_7vsmem_tE
		.amdhsa_group_segment_fixed_size 8448
		.amdhsa_private_segment_fixed_size 0
		.amdhsa_kernarg_size 320
		.amdhsa_user_sgpr_count 6
		.amdhsa_user_sgpr_private_segment_buffer 1
		.amdhsa_user_sgpr_dispatch_ptr 0
		.amdhsa_user_sgpr_queue_ptr 0
		.amdhsa_user_sgpr_kernarg_segment_ptr 1
		.amdhsa_user_sgpr_dispatch_id 0
		.amdhsa_user_sgpr_flat_scratch_init 0
		.amdhsa_user_sgpr_private_segment_size 0
		.amdhsa_uses_dynamic_stack 0
		.amdhsa_system_sgpr_private_segment_wavefront_offset 0
		.amdhsa_system_sgpr_workgroup_id_x 1
		.amdhsa_system_sgpr_workgroup_id_y 1
		.amdhsa_system_sgpr_workgroup_id_z 1
		.amdhsa_system_sgpr_workgroup_info 0
		.amdhsa_system_vgpr_workitem_id 0
		.amdhsa_next_free_vgpr 49
		.amdhsa_next_free_sgpr 98
		.amdhsa_reserve_vcc 1
		.amdhsa_reserve_flat_scratch 0
		.amdhsa_float_round_mode_32 0
		.amdhsa_float_round_mode_16_64 0
		.amdhsa_float_denorm_mode_32 3
		.amdhsa_float_denorm_mode_16_64 3
		.amdhsa_dx10_clamp 1
		.amdhsa_ieee_mode 1
		.amdhsa_fp16_overflow 0
		.amdhsa_exception_fp_ieee_invalid_op 0
		.amdhsa_exception_fp_denorm_src 0
		.amdhsa_exception_fp_ieee_div_zero 0
		.amdhsa_exception_fp_ieee_overflow 0
		.amdhsa_exception_fp_ieee_underflow 0
		.amdhsa_exception_fp_ieee_inexact 0
		.amdhsa_exception_int_div_zero 0
	.end_amdhsa_kernel
	.section	.text._ZN7rocprim17ROCPRIM_304000_NS6detail35device_block_merge_mergepath_kernelINS1_37wrapped_merge_sort_block_merge_configINS0_14default_configEmN2at4cuda3cub6detail10OpaqueTypeILi8EEEEEPmSC_PSA_SD_jNS1_19radix_merge_compareILb1ELb0EmNS0_19identity_decomposerEEEEEvT0_T1_T2_T3_T4_SL_jT5_PKSL_NS1_7vsmem_tE,"axG",@progbits,_ZN7rocprim17ROCPRIM_304000_NS6detail35device_block_merge_mergepath_kernelINS1_37wrapped_merge_sort_block_merge_configINS0_14default_configEmN2at4cuda3cub6detail10OpaqueTypeILi8EEEEEPmSC_PSA_SD_jNS1_19radix_merge_compareILb1ELb0EmNS0_19identity_decomposerEEEEEvT0_T1_T2_T3_T4_SL_jT5_PKSL_NS1_7vsmem_tE,comdat
.Lfunc_end3:
	.size	_ZN7rocprim17ROCPRIM_304000_NS6detail35device_block_merge_mergepath_kernelINS1_37wrapped_merge_sort_block_merge_configINS0_14default_configEmN2at4cuda3cub6detail10OpaqueTypeILi8EEEEEPmSC_PSA_SD_jNS1_19radix_merge_compareILb1ELb0EmNS0_19identity_decomposerEEEEEvT0_T1_T2_T3_T4_SL_jT5_PKSL_NS1_7vsmem_tE, .Lfunc_end3-_ZN7rocprim17ROCPRIM_304000_NS6detail35device_block_merge_mergepath_kernelINS1_37wrapped_merge_sort_block_merge_configINS0_14default_configEmN2at4cuda3cub6detail10OpaqueTypeILi8EEEEEPmSC_PSA_SD_jNS1_19radix_merge_compareILb1ELb0EmNS0_19identity_decomposerEEEEEvT0_T1_T2_T3_T4_SL_jT5_PKSL_NS1_7vsmem_tE
                                        ; -- End function
	.set _ZN7rocprim17ROCPRIM_304000_NS6detail35device_block_merge_mergepath_kernelINS1_37wrapped_merge_sort_block_merge_configINS0_14default_configEmN2at4cuda3cub6detail10OpaqueTypeILi8EEEEEPmSC_PSA_SD_jNS1_19radix_merge_compareILb1ELb0EmNS0_19identity_decomposerEEEEEvT0_T1_T2_T3_T4_SL_jT5_PKSL_NS1_7vsmem_tE.num_vgpr, 45
	.set _ZN7rocprim17ROCPRIM_304000_NS6detail35device_block_merge_mergepath_kernelINS1_37wrapped_merge_sort_block_merge_configINS0_14default_configEmN2at4cuda3cub6detail10OpaqueTypeILi8EEEEEPmSC_PSA_SD_jNS1_19radix_merge_compareILb1ELb0EmNS0_19identity_decomposerEEEEEvT0_T1_T2_T3_T4_SL_jT5_PKSL_NS1_7vsmem_tE.num_agpr, 0
	.set _ZN7rocprim17ROCPRIM_304000_NS6detail35device_block_merge_mergepath_kernelINS1_37wrapped_merge_sort_block_merge_configINS0_14default_configEmN2at4cuda3cub6detail10OpaqueTypeILi8EEEEEPmSC_PSA_SD_jNS1_19radix_merge_compareILb1ELb0EmNS0_19identity_decomposerEEEEEvT0_T1_T2_T3_T4_SL_jT5_PKSL_NS1_7vsmem_tE.numbered_sgpr, 34
	.set _ZN7rocprim17ROCPRIM_304000_NS6detail35device_block_merge_mergepath_kernelINS1_37wrapped_merge_sort_block_merge_configINS0_14default_configEmN2at4cuda3cub6detail10OpaqueTypeILi8EEEEEPmSC_PSA_SD_jNS1_19radix_merge_compareILb1ELb0EmNS0_19identity_decomposerEEEEEvT0_T1_T2_T3_T4_SL_jT5_PKSL_NS1_7vsmem_tE.num_named_barrier, 0
	.set _ZN7rocprim17ROCPRIM_304000_NS6detail35device_block_merge_mergepath_kernelINS1_37wrapped_merge_sort_block_merge_configINS0_14default_configEmN2at4cuda3cub6detail10OpaqueTypeILi8EEEEEPmSC_PSA_SD_jNS1_19radix_merge_compareILb1ELb0EmNS0_19identity_decomposerEEEEEvT0_T1_T2_T3_T4_SL_jT5_PKSL_NS1_7vsmem_tE.private_seg_size, 0
	.set _ZN7rocprim17ROCPRIM_304000_NS6detail35device_block_merge_mergepath_kernelINS1_37wrapped_merge_sort_block_merge_configINS0_14default_configEmN2at4cuda3cub6detail10OpaqueTypeILi8EEEEEPmSC_PSA_SD_jNS1_19radix_merge_compareILb1ELb0EmNS0_19identity_decomposerEEEEEvT0_T1_T2_T3_T4_SL_jT5_PKSL_NS1_7vsmem_tE.uses_vcc, 1
	.set _ZN7rocprim17ROCPRIM_304000_NS6detail35device_block_merge_mergepath_kernelINS1_37wrapped_merge_sort_block_merge_configINS0_14default_configEmN2at4cuda3cub6detail10OpaqueTypeILi8EEEEEPmSC_PSA_SD_jNS1_19radix_merge_compareILb1ELb0EmNS0_19identity_decomposerEEEEEvT0_T1_T2_T3_T4_SL_jT5_PKSL_NS1_7vsmem_tE.uses_flat_scratch, 0
	.set _ZN7rocprim17ROCPRIM_304000_NS6detail35device_block_merge_mergepath_kernelINS1_37wrapped_merge_sort_block_merge_configINS0_14default_configEmN2at4cuda3cub6detail10OpaqueTypeILi8EEEEEPmSC_PSA_SD_jNS1_19radix_merge_compareILb1ELb0EmNS0_19identity_decomposerEEEEEvT0_T1_T2_T3_T4_SL_jT5_PKSL_NS1_7vsmem_tE.has_dyn_sized_stack, 0
	.set _ZN7rocprim17ROCPRIM_304000_NS6detail35device_block_merge_mergepath_kernelINS1_37wrapped_merge_sort_block_merge_configINS0_14default_configEmN2at4cuda3cub6detail10OpaqueTypeILi8EEEEEPmSC_PSA_SD_jNS1_19radix_merge_compareILb1ELb0EmNS0_19identity_decomposerEEEEEvT0_T1_T2_T3_T4_SL_jT5_PKSL_NS1_7vsmem_tE.has_recursion, 0
	.set _ZN7rocprim17ROCPRIM_304000_NS6detail35device_block_merge_mergepath_kernelINS1_37wrapped_merge_sort_block_merge_configINS0_14default_configEmN2at4cuda3cub6detail10OpaqueTypeILi8EEEEEPmSC_PSA_SD_jNS1_19radix_merge_compareILb1ELb0EmNS0_19identity_decomposerEEEEEvT0_T1_T2_T3_T4_SL_jT5_PKSL_NS1_7vsmem_tE.has_indirect_call, 0
	.section	.AMDGPU.csdata,"",@progbits
; Kernel info:
; codeLenInByte = 6260
; TotalNumSgprs: 38
; NumVgprs: 45
; ScratchSize: 0
; MemoryBound: 1
; FloatMode: 240
; IeeeMode: 1
; LDSByteSize: 8448 bytes/workgroup (compile time only)
; SGPRBlocks: 12
; VGPRBlocks: 12
; NumSGPRsForWavesPerEU: 102
; NumVGPRsForWavesPerEU: 49
; Occupancy: 4
; WaveLimiterHint : 1
; COMPUTE_PGM_RSRC2:SCRATCH_EN: 0
; COMPUTE_PGM_RSRC2:USER_SGPR: 6
; COMPUTE_PGM_RSRC2:TRAP_HANDLER: 0
; COMPUTE_PGM_RSRC2:TGID_X_EN: 1
; COMPUTE_PGM_RSRC2:TGID_Y_EN: 1
; COMPUTE_PGM_RSRC2:TGID_Z_EN: 1
; COMPUTE_PGM_RSRC2:TIDIG_COMP_CNT: 0
	.section	.text._ZN7rocprim17ROCPRIM_304000_NS6detail33device_block_merge_oddeven_kernelINS1_37wrapped_merge_sort_block_merge_configINS0_14default_configEmN2at4cuda3cub6detail10OpaqueTypeILi8EEEEEPmSC_PSA_SD_jNS1_19radix_merge_compareILb1ELb0EmNS0_19identity_decomposerEEEEEvT0_T1_T2_T3_T4_SL_T5_,"axG",@progbits,_ZN7rocprim17ROCPRIM_304000_NS6detail33device_block_merge_oddeven_kernelINS1_37wrapped_merge_sort_block_merge_configINS0_14default_configEmN2at4cuda3cub6detail10OpaqueTypeILi8EEEEEPmSC_PSA_SD_jNS1_19radix_merge_compareILb1ELb0EmNS0_19identity_decomposerEEEEEvT0_T1_T2_T3_T4_SL_T5_,comdat
	.protected	_ZN7rocprim17ROCPRIM_304000_NS6detail33device_block_merge_oddeven_kernelINS1_37wrapped_merge_sort_block_merge_configINS0_14default_configEmN2at4cuda3cub6detail10OpaqueTypeILi8EEEEEPmSC_PSA_SD_jNS1_19radix_merge_compareILb1ELb0EmNS0_19identity_decomposerEEEEEvT0_T1_T2_T3_T4_SL_T5_ ; -- Begin function _ZN7rocprim17ROCPRIM_304000_NS6detail33device_block_merge_oddeven_kernelINS1_37wrapped_merge_sort_block_merge_configINS0_14default_configEmN2at4cuda3cub6detail10OpaqueTypeILi8EEEEEPmSC_PSA_SD_jNS1_19radix_merge_compareILb1ELb0EmNS0_19identity_decomposerEEEEEvT0_T1_T2_T3_T4_SL_T5_
	.globl	_ZN7rocprim17ROCPRIM_304000_NS6detail33device_block_merge_oddeven_kernelINS1_37wrapped_merge_sort_block_merge_configINS0_14default_configEmN2at4cuda3cub6detail10OpaqueTypeILi8EEEEEPmSC_PSA_SD_jNS1_19radix_merge_compareILb1ELb0EmNS0_19identity_decomposerEEEEEvT0_T1_T2_T3_T4_SL_T5_
	.p2align	8
	.type	_ZN7rocprim17ROCPRIM_304000_NS6detail33device_block_merge_oddeven_kernelINS1_37wrapped_merge_sort_block_merge_configINS0_14default_configEmN2at4cuda3cub6detail10OpaqueTypeILi8EEEEEPmSC_PSA_SD_jNS1_19radix_merge_compareILb1ELb0EmNS0_19identity_decomposerEEEEEvT0_T1_T2_T3_T4_SL_T5_,@function
_ZN7rocprim17ROCPRIM_304000_NS6detail33device_block_merge_oddeven_kernelINS1_37wrapped_merge_sort_block_merge_configINS0_14default_configEmN2at4cuda3cub6detail10OpaqueTypeILi8EEEEEPmSC_PSA_SD_jNS1_19radix_merge_compareILb1ELb0EmNS0_19identity_decomposerEEEEEvT0_T1_T2_T3_T4_SL_T5_: ; @_ZN7rocprim17ROCPRIM_304000_NS6detail33device_block_merge_oddeven_kernelINS1_37wrapped_merge_sort_block_merge_configINS0_14default_configEmN2at4cuda3cub6detail10OpaqueTypeILi8EEEEEPmSC_PSA_SD_jNS1_19radix_merge_compareILb1ELb0EmNS0_19identity_decomposerEEEEEvT0_T1_T2_T3_T4_SL_T5_
; %bb.0:
	s_load_dwordx2 s[18:19], s[4:5], 0x20
	s_waitcnt lgkmcnt(0)
	s_lshr_b32 s0, s18, 8
	s_cmp_eq_u32 s6, s0
	s_cselect_b64 s[16:17], -1, 0
	s_cmp_lg_u32 s6, s0
	s_cselect_b64 s[0:1], -1, 0
	s_lshl_b32 s20, s6, 8
	s_sub_i32 s2, s18, s20
	v_cmp_gt_u32_e64 s[2:3], s2, v0
	s_or_b64 s[0:1], s[0:1], s[2:3]
	s_and_saveexec_b64 s[8:9], s[0:1]
	s_cbranch_execz .LBB4_24
; %bb.1:
	s_load_dwordx8 s[8:15], s[4:5], 0x0
	s_mov_b32 s21, 0
	s_lshl_b64 s[0:1], s[20:21], 3
	v_lshlrev_b32_e32 v5, 3, v0
	s_waitcnt lgkmcnt(0)
	s_add_u32 s4, s8, s0
	s_addc_u32 s5, s9, s1
	s_add_u32 s0, s12, s0
	s_addc_u32 s1, s13, s1
	global_load_dwordx2 v[1:2], v5, s[0:1]
	global_load_dwordx2 v[3:4], v5, s[4:5]
	s_lshr_b32 s0, s19, 8
	s_sub_i32 s1, 0, s0
	s_and_b32 s1, s6, s1
	s_and_b32 s0, s1, s0
	s_lshl_b32 s13, s1, 8
	s_sub_i32 s6, 0, s19
	s_cmp_eq_u32 s0, 0
	s_cselect_b64 s[0:1], -1, 0
	s_and_b64 s[4:5], s[0:1], exec
	s_cselect_b32 s6, s19, s6
	s_add_i32 s6, s6, s13
	s_mov_b64 s[4:5], -1
	s_cmp_gt_u32 s18, s6
	v_add_u32_e32 v5, s20, v0
	s_cbranch_scc1 .LBB4_9
; %bb.2:
	s_and_b64 vcc, exec, s[16:17]
	s_cbranch_vccz .LBB4_6
; %bb.3:
	v_cmp_gt_u32_e32 vcc, s18, v5
	s_and_saveexec_b64 s[4:5], vcc
	s_cbranch_execz .LBB4_5
; %bb.4:
	v_mov_b32_e32 v6, 0
	v_lshlrev_b64 v[6:7], 3, v[5:6]
	v_mov_b32_e32 v0, s15
	v_add_co_u32_e32 v8, vcc, s14, v6
	v_addc_co_u32_e32 v9, vcc, v0, v7, vcc
	v_mov_b32_e32 v0, s11
	v_add_co_u32_e32 v6, vcc, s10, v6
	v_addc_co_u32_e32 v7, vcc, v0, v7, vcc
	s_waitcnt vmcnt(0)
	global_store_dwordx2 v[6:7], v[3:4], off
	global_store_dwordx2 v[8:9], v[1:2], off
.LBB4_5:
	s_or_b64 exec, exec, s[4:5]
	s_mov_b64 s[4:5], 0
.LBB4_6:
	s_andn2_b64 vcc, exec, s[4:5]
	s_cbranch_vccnz .LBB4_8
; %bb.7:
	v_mov_b32_e32 v6, 0
	v_lshlrev_b64 v[6:7], 3, v[5:6]
	v_mov_b32_e32 v0, s11
	v_add_co_u32_e32 v8, vcc, s10, v6
	v_addc_co_u32_e32 v9, vcc, v0, v7, vcc
	v_mov_b32_e32 v0, s15
	v_add_co_u32_e32 v6, vcc, s14, v6
	v_addc_co_u32_e32 v7, vcc, v0, v7, vcc
	s_waitcnt vmcnt(0)
	global_store_dwordx2 v[8:9], v[3:4], off
	global_store_dwordx2 v[6:7], v[1:2], off
.LBB4_8:
	s_mov_b64 s[4:5], 0
.LBB4_9:
	s_andn2_b64 vcc, exec, s[4:5]
	s_cbranch_vccnz .LBB4_24
; %bb.10:
	s_min_u32 s7, s6, s18
	s_add_i32 s4, s7, s19
	s_min_u32 s12, s4, s18
	s_min_u32 s4, s13, s7
	s_add_i32 s13, s13, s7
	v_subrev_u32_e32 v0, s13, v5
	v_add_u32_e32 v0, s4, v0
	s_andn2_b64 vcc, exec, s[16:17]
	s_mov_b64 s[4:5], -1
	s_cbranch_vccnz .LBB4_18
; %bb.11:
	s_and_saveexec_b64 s[4:5], s[2:3]
	s_cbranch_execz .LBB4_17
; %bb.12:
	s_cmp_ge_u32 s6, s12
	v_mov_b32_e32 v7, s7
	s_cbranch_scc1 .LBB4_16
; %bb.13:
	s_mov_b64 s[2:3], 0
	v_mov_b32_e32 v8, s12
	v_mov_b32_e32 v7, s7
	v_mov_b32_e32 v6, 0
	v_mov_b32_e32 v9, s9
.LBB4_14:                               ; =>This Inner Loop Header: Depth=1
	v_add_u32_e32 v5, v7, v8
	v_lshrrev_b32_e32 v5, 1, v5
	v_lshlrev_b64 v[10:11], 3, v[5:6]
	v_add_u32_e32 v12, 1, v5
	v_add_co_u32_e32 v10, vcc, s8, v10
	v_addc_co_u32_e32 v11, vcc, v9, v11, vcc
	global_load_dwordx2 v[10:11], v[10:11], off
	s_waitcnt vmcnt(0)
	v_cmp_gt_u64_e32 vcc, v[10:11], v[3:4]
	v_cndmask_b32_e64 v13, 0, 1, vcc
	v_cmp_le_u64_e32 vcc, v[3:4], v[10:11]
	v_cndmask_b32_e64 v10, 0, 1, vcc
	v_cndmask_b32_e64 v10, v10, v13, s[0:1]
	v_and_b32_e32 v10, 1, v10
	v_cmp_eq_u32_e32 vcc, 1, v10
	v_cndmask_b32_e32 v8, v5, v8, vcc
	v_cndmask_b32_e32 v7, v7, v12, vcc
	v_cmp_ge_u32_e32 vcc, v7, v8
	s_or_b64 s[2:3], vcc, s[2:3]
	s_andn2_b64 exec, exec, s[2:3]
	s_cbranch_execnz .LBB4_14
; %bb.15:
	s_or_b64 exec, exec, s[2:3]
.LBB4_16:
	v_add_u32_e32 v5, v7, v0
	v_mov_b32_e32 v6, 0
	v_lshlrev_b64 v[5:6], 3, v[5:6]
	v_mov_b32_e32 v8, s11
	v_add_co_u32_e32 v7, vcc, s10, v5
	v_addc_co_u32_e32 v8, vcc, v8, v6, vcc
	s_waitcnt vmcnt(0)
	global_store_dwordx2 v[7:8], v[3:4], off
	v_mov_b32_e32 v7, s15
	v_add_co_u32_e32 v5, vcc, s14, v5
	v_addc_co_u32_e32 v6, vcc, v7, v6, vcc
	global_store_dwordx2 v[5:6], v[1:2], off
.LBB4_17:
	s_or_b64 exec, exec, s[4:5]
	s_mov_b64 s[4:5], 0
.LBB4_18:
	s_andn2_b64 vcc, exec, s[4:5]
	s_cbranch_vccnz .LBB4_24
; %bb.19:
	s_cmp_ge_u32 s6, s12
	v_mov_b32_e32 v7, s7
	s_cbranch_scc1 .LBB4_23
; %bb.20:
	s_mov_b64 s[2:3], 0
	v_mov_b32_e32 v8, s12
	v_mov_b32_e32 v7, s7
	;; [unrolled: 1-line block ×4, first 2 shown]
.LBB4_21:                               ; =>This Inner Loop Header: Depth=1
	v_add_u32_e32 v5, v7, v8
	v_lshrrev_b32_e32 v5, 1, v5
	v_lshlrev_b64 v[10:11], 3, v[5:6]
	v_add_u32_e32 v12, 1, v5
	v_add_co_u32_e32 v10, vcc, s8, v10
	v_addc_co_u32_e32 v11, vcc, v9, v11, vcc
	global_load_dwordx2 v[10:11], v[10:11], off
	s_waitcnt vmcnt(0)
	v_cmp_gt_u64_e32 vcc, v[10:11], v[3:4]
	v_cndmask_b32_e64 v13, 0, 1, vcc
	v_cmp_le_u64_e32 vcc, v[3:4], v[10:11]
	v_cndmask_b32_e64 v10, 0, 1, vcc
	v_cndmask_b32_e64 v10, v10, v13, s[0:1]
	v_and_b32_e32 v10, 1, v10
	v_cmp_eq_u32_e32 vcc, 1, v10
	v_cndmask_b32_e32 v8, v5, v8, vcc
	v_cndmask_b32_e32 v7, v7, v12, vcc
	v_cmp_ge_u32_e32 vcc, v7, v8
	s_or_b64 s[2:3], vcc, s[2:3]
	s_andn2_b64 exec, exec, s[2:3]
	s_cbranch_execnz .LBB4_21
; %bb.22:
	s_or_b64 exec, exec, s[2:3]
.LBB4_23:
	v_add_u32_e32 v5, v7, v0
	v_mov_b32_e32 v6, 0
	v_lshlrev_b64 v[5:6], 3, v[5:6]
	v_mov_b32_e32 v0, s11
	v_add_co_u32_e32 v7, vcc, s10, v5
	v_addc_co_u32_e32 v8, vcc, v0, v6, vcc
	s_waitcnt vmcnt(0)
	global_store_dwordx2 v[7:8], v[3:4], off
	v_mov_b32_e32 v0, s15
	v_add_co_u32_e32 v3, vcc, s14, v5
	v_addc_co_u32_e32 v4, vcc, v0, v6, vcc
	global_store_dwordx2 v[3:4], v[1:2], off
.LBB4_24:
	s_endpgm
	.section	.rodata,"a",@progbits
	.p2align	6, 0x0
	.amdhsa_kernel _ZN7rocprim17ROCPRIM_304000_NS6detail33device_block_merge_oddeven_kernelINS1_37wrapped_merge_sort_block_merge_configINS0_14default_configEmN2at4cuda3cub6detail10OpaqueTypeILi8EEEEEPmSC_PSA_SD_jNS1_19radix_merge_compareILb1ELb0EmNS0_19identity_decomposerEEEEEvT0_T1_T2_T3_T4_SL_T5_
		.amdhsa_group_segment_fixed_size 0
		.amdhsa_private_segment_fixed_size 0
		.amdhsa_kernarg_size 44
		.amdhsa_user_sgpr_count 6
		.amdhsa_user_sgpr_private_segment_buffer 1
		.amdhsa_user_sgpr_dispatch_ptr 0
		.amdhsa_user_sgpr_queue_ptr 0
		.amdhsa_user_sgpr_kernarg_segment_ptr 1
		.amdhsa_user_sgpr_dispatch_id 0
		.amdhsa_user_sgpr_flat_scratch_init 0
		.amdhsa_user_sgpr_private_segment_size 0
		.amdhsa_uses_dynamic_stack 0
		.amdhsa_system_sgpr_private_segment_wavefront_offset 0
		.amdhsa_system_sgpr_workgroup_id_x 1
		.amdhsa_system_sgpr_workgroup_id_y 0
		.amdhsa_system_sgpr_workgroup_id_z 0
		.amdhsa_system_sgpr_workgroup_info 0
		.amdhsa_system_vgpr_workitem_id 0
		.amdhsa_next_free_vgpr 14
		.amdhsa_next_free_sgpr 22
		.amdhsa_reserve_vcc 1
		.amdhsa_reserve_flat_scratch 0
		.amdhsa_float_round_mode_32 0
		.amdhsa_float_round_mode_16_64 0
		.amdhsa_float_denorm_mode_32 3
		.amdhsa_float_denorm_mode_16_64 3
		.amdhsa_dx10_clamp 1
		.amdhsa_ieee_mode 1
		.amdhsa_fp16_overflow 0
		.amdhsa_exception_fp_ieee_invalid_op 0
		.amdhsa_exception_fp_denorm_src 0
		.amdhsa_exception_fp_ieee_div_zero 0
		.amdhsa_exception_fp_ieee_overflow 0
		.amdhsa_exception_fp_ieee_underflow 0
		.amdhsa_exception_fp_ieee_inexact 0
		.amdhsa_exception_int_div_zero 0
	.end_amdhsa_kernel
	.section	.text._ZN7rocprim17ROCPRIM_304000_NS6detail33device_block_merge_oddeven_kernelINS1_37wrapped_merge_sort_block_merge_configINS0_14default_configEmN2at4cuda3cub6detail10OpaqueTypeILi8EEEEEPmSC_PSA_SD_jNS1_19radix_merge_compareILb1ELb0EmNS0_19identity_decomposerEEEEEvT0_T1_T2_T3_T4_SL_T5_,"axG",@progbits,_ZN7rocprim17ROCPRIM_304000_NS6detail33device_block_merge_oddeven_kernelINS1_37wrapped_merge_sort_block_merge_configINS0_14default_configEmN2at4cuda3cub6detail10OpaqueTypeILi8EEEEEPmSC_PSA_SD_jNS1_19radix_merge_compareILb1ELb0EmNS0_19identity_decomposerEEEEEvT0_T1_T2_T3_T4_SL_T5_,comdat
.Lfunc_end4:
	.size	_ZN7rocprim17ROCPRIM_304000_NS6detail33device_block_merge_oddeven_kernelINS1_37wrapped_merge_sort_block_merge_configINS0_14default_configEmN2at4cuda3cub6detail10OpaqueTypeILi8EEEEEPmSC_PSA_SD_jNS1_19radix_merge_compareILb1ELb0EmNS0_19identity_decomposerEEEEEvT0_T1_T2_T3_T4_SL_T5_, .Lfunc_end4-_ZN7rocprim17ROCPRIM_304000_NS6detail33device_block_merge_oddeven_kernelINS1_37wrapped_merge_sort_block_merge_configINS0_14default_configEmN2at4cuda3cub6detail10OpaqueTypeILi8EEEEEPmSC_PSA_SD_jNS1_19radix_merge_compareILb1ELb0EmNS0_19identity_decomposerEEEEEvT0_T1_T2_T3_T4_SL_T5_
                                        ; -- End function
	.set _ZN7rocprim17ROCPRIM_304000_NS6detail33device_block_merge_oddeven_kernelINS1_37wrapped_merge_sort_block_merge_configINS0_14default_configEmN2at4cuda3cub6detail10OpaqueTypeILi8EEEEEPmSC_PSA_SD_jNS1_19radix_merge_compareILb1ELb0EmNS0_19identity_decomposerEEEEEvT0_T1_T2_T3_T4_SL_T5_.num_vgpr, 14
	.set _ZN7rocprim17ROCPRIM_304000_NS6detail33device_block_merge_oddeven_kernelINS1_37wrapped_merge_sort_block_merge_configINS0_14default_configEmN2at4cuda3cub6detail10OpaqueTypeILi8EEEEEPmSC_PSA_SD_jNS1_19radix_merge_compareILb1ELb0EmNS0_19identity_decomposerEEEEEvT0_T1_T2_T3_T4_SL_T5_.num_agpr, 0
	.set _ZN7rocprim17ROCPRIM_304000_NS6detail33device_block_merge_oddeven_kernelINS1_37wrapped_merge_sort_block_merge_configINS0_14default_configEmN2at4cuda3cub6detail10OpaqueTypeILi8EEEEEPmSC_PSA_SD_jNS1_19radix_merge_compareILb1ELb0EmNS0_19identity_decomposerEEEEEvT0_T1_T2_T3_T4_SL_T5_.numbered_sgpr, 22
	.set _ZN7rocprim17ROCPRIM_304000_NS6detail33device_block_merge_oddeven_kernelINS1_37wrapped_merge_sort_block_merge_configINS0_14default_configEmN2at4cuda3cub6detail10OpaqueTypeILi8EEEEEPmSC_PSA_SD_jNS1_19radix_merge_compareILb1ELb0EmNS0_19identity_decomposerEEEEEvT0_T1_T2_T3_T4_SL_T5_.num_named_barrier, 0
	.set _ZN7rocprim17ROCPRIM_304000_NS6detail33device_block_merge_oddeven_kernelINS1_37wrapped_merge_sort_block_merge_configINS0_14default_configEmN2at4cuda3cub6detail10OpaqueTypeILi8EEEEEPmSC_PSA_SD_jNS1_19radix_merge_compareILb1ELb0EmNS0_19identity_decomposerEEEEEvT0_T1_T2_T3_T4_SL_T5_.private_seg_size, 0
	.set _ZN7rocprim17ROCPRIM_304000_NS6detail33device_block_merge_oddeven_kernelINS1_37wrapped_merge_sort_block_merge_configINS0_14default_configEmN2at4cuda3cub6detail10OpaqueTypeILi8EEEEEPmSC_PSA_SD_jNS1_19radix_merge_compareILb1ELb0EmNS0_19identity_decomposerEEEEEvT0_T1_T2_T3_T4_SL_T5_.uses_vcc, 1
	.set _ZN7rocprim17ROCPRIM_304000_NS6detail33device_block_merge_oddeven_kernelINS1_37wrapped_merge_sort_block_merge_configINS0_14default_configEmN2at4cuda3cub6detail10OpaqueTypeILi8EEEEEPmSC_PSA_SD_jNS1_19radix_merge_compareILb1ELb0EmNS0_19identity_decomposerEEEEEvT0_T1_T2_T3_T4_SL_T5_.uses_flat_scratch, 0
	.set _ZN7rocprim17ROCPRIM_304000_NS6detail33device_block_merge_oddeven_kernelINS1_37wrapped_merge_sort_block_merge_configINS0_14default_configEmN2at4cuda3cub6detail10OpaqueTypeILi8EEEEEPmSC_PSA_SD_jNS1_19radix_merge_compareILb1ELb0EmNS0_19identity_decomposerEEEEEvT0_T1_T2_T3_T4_SL_T5_.has_dyn_sized_stack, 0
	.set _ZN7rocprim17ROCPRIM_304000_NS6detail33device_block_merge_oddeven_kernelINS1_37wrapped_merge_sort_block_merge_configINS0_14default_configEmN2at4cuda3cub6detail10OpaqueTypeILi8EEEEEPmSC_PSA_SD_jNS1_19radix_merge_compareILb1ELb0EmNS0_19identity_decomposerEEEEEvT0_T1_T2_T3_T4_SL_T5_.has_recursion, 0
	.set _ZN7rocprim17ROCPRIM_304000_NS6detail33device_block_merge_oddeven_kernelINS1_37wrapped_merge_sort_block_merge_configINS0_14default_configEmN2at4cuda3cub6detail10OpaqueTypeILi8EEEEEPmSC_PSA_SD_jNS1_19radix_merge_compareILb1ELb0EmNS0_19identity_decomposerEEEEEvT0_T1_T2_T3_T4_SL_T5_.has_indirect_call, 0
	.section	.AMDGPU.csdata,"",@progbits
; Kernel info:
; codeLenInByte = 804
; TotalNumSgprs: 26
; NumVgprs: 14
; ScratchSize: 0
; MemoryBound: 0
; FloatMode: 240
; IeeeMode: 1
; LDSByteSize: 0 bytes/workgroup (compile time only)
; SGPRBlocks: 3
; VGPRBlocks: 3
; NumSGPRsForWavesPerEU: 26
; NumVGPRsForWavesPerEU: 14
; Occupancy: 10
; WaveLimiterHint : 0
; COMPUTE_PGM_RSRC2:SCRATCH_EN: 0
; COMPUTE_PGM_RSRC2:USER_SGPR: 6
; COMPUTE_PGM_RSRC2:TRAP_HANDLER: 0
; COMPUTE_PGM_RSRC2:TGID_X_EN: 1
; COMPUTE_PGM_RSRC2:TGID_Y_EN: 0
; COMPUTE_PGM_RSRC2:TGID_Z_EN: 0
; COMPUTE_PGM_RSRC2:TIDIG_COMP_CNT: 0
	.section	.text._ZN7rocprim17ROCPRIM_304000_NS6detail16transform_kernelINS1_24wrapped_transform_configINS0_14default_configEmEEmPmS6_NS0_8identityImEEEEvT1_mT2_T3_,"axG",@progbits,_ZN7rocprim17ROCPRIM_304000_NS6detail16transform_kernelINS1_24wrapped_transform_configINS0_14default_configEmEEmPmS6_NS0_8identityImEEEEvT1_mT2_T3_,comdat
	.protected	_ZN7rocprim17ROCPRIM_304000_NS6detail16transform_kernelINS1_24wrapped_transform_configINS0_14default_configEmEEmPmS6_NS0_8identityImEEEEvT1_mT2_T3_ ; -- Begin function _ZN7rocprim17ROCPRIM_304000_NS6detail16transform_kernelINS1_24wrapped_transform_configINS0_14default_configEmEEmPmS6_NS0_8identityImEEEEvT1_mT2_T3_
	.globl	_ZN7rocprim17ROCPRIM_304000_NS6detail16transform_kernelINS1_24wrapped_transform_configINS0_14default_configEmEEmPmS6_NS0_8identityImEEEEvT1_mT2_T3_
	.p2align	8
	.type	_ZN7rocprim17ROCPRIM_304000_NS6detail16transform_kernelINS1_24wrapped_transform_configINS0_14default_configEmEEmPmS6_NS0_8identityImEEEEvT1_mT2_T3_,@function
_ZN7rocprim17ROCPRIM_304000_NS6detail16transform_kernelINS1_24wrapped_transform_configINS0_14default_configEmEEmPmS6_NS0_8identityImEEEEvT1_mT2_T3_: ; @_ZN7rocprim17ROCPRIM_304000_NS6detail16transform_kernelINS1_24wrapped_transform_configINS0_14default_configEmEEmPmS6_NS0_8identityImEEEEvT1_mT2_T3_
; %bb.0:
	s_load_dword s7, s[4:5], 0x20
	s_load_dwordx4 s[0:3], s[4:5], 0x0
	s_lshl_b32 s8, s6, 9
	s_waitcnt lgkmcnt(0)
	s_add_i32 s7, s7, -1
	s_cmp_lg_u32 s6, s7
	s_cselect_b64 s[6:7], -1, 0
	s_sub_i32 s2, s2, s8
	v_cmp_gt_u32_e32 vcc, s2, v0
	s_or_b64 s[2:3], vcc, s[6:7]
	s_and_saveexec_b64 s[6:7], s[2:3]
	s_cbranch_execz .LBB5_2
; %bb.1:
	s_load_dwordx2 s[2:3], s[4:5], 0x10
	s_mov_b32 s9, 0
	s_lshl_b64 s[4:5], s[8:9], 3
	v_lshlrev_b32_e32 v2, 3, v0
	s_waitcnt lgkmcnt(0)
	s_add_u32 s2, s2, s4
	s_addc_u32 s3, s3, s5
	s_add_u32 s0, s0, s4
	s_addc_u32 s1, s1, s5
	global_load_dwordx2 v[0:1], v2, s[0:1]
	s_waitcnt vmcnt(0)
	global_store_dwordx2 v2, v[0:1], s[2:3]
.LBB5_2:
	s_endpgm
	.section	.rodata,"a",@progbits
	.p2align	6, 0x0
	.amdhsa_kernel _ZN7rocprim17ROCPRIM_304000_NS6detail16transform_kernelINS1_24wrapped_transform_configINS0_14default_configEmEEmPmS6_NS0_8identityImEEEEvT1_mT2_T3_
		.amdhsa_group_segment_fixed_size 0
		.amdhsa_private_segment_fixed_size 0
		.amdhsa_kernarg_size 288
		.amdhsa_user_sgpr_count 6
		.amdhsa_user_sgpr_private_segment_buffer 1
		.amdhsa_user_sgpr_dispatch_ptr 0
		.amdhsa_user_sgpr_queue_ptr 0
		.amdhsa_user_sgpr_kernarg_segment_ptr 1
		.amdhsa_user_sgpr_dispatch_id 0
		.amdhsa_user_sgpr_flat_scratch_init 0
		.amdhsa_user_sgpr_private_segment_size 0
		.amdhsa_uses_dynamic_stack 0
		.amdhsa_system_sgpr_private_segment_wavefront_offset 0
		.amdhsa_system_sgpr_workgroup_id_x 1
		.amdhsa_system_sgpr_workgroup_id_y 0
		.amdhsa_system_sgpr_workgroup_id_z 0
		.amdhsa_system_sgpr_workgroup_info 0
		.amdhsa_system_vgpr_workitem_id 0
		.amdhsa_next_free_vgpr 3
		.amdhsa_next_free_sgpr 10
		.amdhsa_reserve_vcc 1
		.amdhsa_reserve_flat_scratch 0
		.amdhsa_float_round_mode_32 0
		.amdhsa_float_round_mode_16_64 0
		.amdhsa_float_denorm_mode_32 3
		.amdhsa_float_denorm_mode_16_64 3
		.amdhsa_dx10_clamp 1
		.amdhsa_ieee_mode 1
		.amdhsa_fp16_overflow 0
		.amdhsa_exception_fp_ieee_invalid_op 0
		.amdhsa_exception_fp_denorm_src 0
		.amdhsa_exception_fp_ieee_div_zero 0
		.amdhsa_exception_fp_ieee_overflow 0
		.amdhsa_exception_fp_ieee_underflow 0
		.amdhsa_exception_fp_ieee_inexact 0
		.amdhsa_exception_int_div_zero 0
	.end_amdhsa_kernel
	.section	.text._ZN7rocprim17ROCPRIM_304000_NS6detail16transform_kernelINS1_24wrapped_transform_configINS0_14default_configEmEEmPmS6_NS0_8identityImEEEEvT1_mT2_T3_,"axG",@progbits,_ZN7rocprim17ROCPRIM_304000_NS6detail16transform_kernelINS1_24wrapped_transform_configINS0_14default_configEmEEmPmS6_NS0_8identityImEEEEvT1_mT2_T3_,comdat
.Lfunc_end5:
	.size	_ZN7rocprim17ROCPRIM_304000_NS6detail16transform_kernelINS1_24wrapped_transform_configINS0_14default_configEmEEmPmS6_NS0_8identityImEEEEvT1_mT2_T3_, .Lfunc_end5-_ZN7rocprim17ROCPRIM_304000_NS6detail16transform_kernelINS1_24wrapped_transform_configINS0_14default_configEmEEmPmS6_NS0_8identityImEEEEvT1_mT2_T3_
                                        ; -- End function
	.set _ZN7rocprim17ROCPRIM_304000_NS6detail16transform_kernelINS1_24wrapped_transform_configINS0_14default_configEmEEmPmS6_NS0_8identityImEEEEvT1_mT2_T3_.num_vgpr, 3
	.set _ZN7rocprim17ROCPRIM_304000_NS6detail16transform_kernelINS1_24wrapped_transform_configINS0_14default_configEmEEmPmS6_NS0_8identityImEEEEvT1_mT2_T3_.num_agpr, 0
	.set _ZN7rocprim17ROCPRIM_304000_NS6detail16transform_kernelINS1_24wrapped_transform_configINS0_14default_configEmEEmPmS6_NS0_8identityImEEEEvT1_mT2_T3_.numbered_sgpr, 10
	.set _ZN7rocprim17ROCPRIM_304000_NS6detail16transform_kernelINS1_24wrapped_transform_configINS0_14default_configEmEEmPmS6_NS0_8identityImEEEEvT1_mT2_T3_.num_named_barrier, 0
	.set _ZN7rocprim17ROCPRIM_304000_NS6detail16transform_kernelINS1_24wrapped_transform_configINS0_14default_configEmEEmPmS6_NS0_8identityImEEEEvT1_mT2_T3_.private_seg_size, 0
	.set _ZN7rocprim17ROCPRIM_304000_NS6detail16transform_kernelINS1_24wrapped_transform_configINS0_14default_configEmEEmPmS6_NS0_8identityImEEEEvT1_mT2_T3_.uses_vcc, 1
	.set _ZN7rocprim17ROCPRIM_304000_NS6detail16transform_kernelINS1_24wrapped_transform_configINS0_14default_configEmEEmPmS6_NS0_8identityImEEEEvT1_mT2_T3_.uses_flat_scratch, 0
	.set _ZN7rocprim17ROCPRIM_304000_NS6detail16transform_kernelINS1_24wrapped_transform_configINS0_14default_configEmEEmPmS6_NS0_8identityImEEEEvT1_mT2_T3_.has_dyn_sized_stack, 0
	.set _ZN7rocprim17ROCPRIM_304000_NS6detail16transform_kernelINS1_24wrapped_transform_configINS0_14default_configEmEEmPmS6_NS0_8identityImEEEEvT1_mT2_T3_.has_recursion, 0
	.set _ZN7rocprim17ROCPRIM_304000_NS6detail16transform_kernelINS1_24wrapped_transform_configINS0_14default_configEmEEmPmS6_NS0_8identityImEEEEvT1_mT2_T3_.has_indirect_call, 0
	.section	.AMDGPU.csdata,"",@progbits
; Kernel info:
; codeLenInByte = 120
; TotalNumSgprs: 14
; NumVgprs: 3
; ScratchSize: 0
; MemoryBound: 0
; FloatMode: 240
; IeeeMode: 1
; LDSByteSize: 0 bytes/workgroup (compile time only)
; SGPRBlocks: 1
; VGPRBlocks: 0
; NumSGPRsForWavesPerEU: 14
; NumVGPRsForWavesPerEU: 3
; Occupancy: 10
; WaveLimiterHint : 0
; COMPUTE_PGM_RSRC2:SCRATCH_EN: 0
; COMPUTE_PGM_RSRC2:USER_SGPR: 6
; COMPUTE_PGM_RSRC2:TRAP_HANDLER: 0
; COMPUTE_PGM_RSRC2:TGID_X_EN: 1
; COMPUTE_PGM_RSRC2:TGID_Y_EN: 0
; COMPUTE_PGM_RSRC2:TGID_Z_EN: 0
; COMPUTE_PGM_RSRC2:TIDIG_COMP_CNT: 0
	.section	.text._ZN7rocprim17ROCPRIM_304000_NS6detail16transform_kernelINS1_24wrapped_transform_configINS0_14default_configEN2at4cuda3cub6detail10OpaqueTypeILi8EEEEESA_PSA_SC_NS0_8identityISA_EEEEvT1_mT2_T3_,"axG",@progbits,_ZN7rocprim17ROCPRIM_304000_NS6detail16transform_kernelINS1_24wrapped_transform_configINS0_14default_configEN2at4cuda3cub6detail10OpaqueTypeILi8EEEEESA_PSA_SC_NS0_8identityISA_EEEEvT1_mT2_T3_,comdat
	.protected	_ZN7rocprim17ROCPRIM_304000_NS6detail16transform_kernelINS1_24wrapped_transform_configINS0_14default_configEN2at4cuda3cub6detail10OpaqueTypeILi8EEEEESA_PSA_SC_NS0_8identityISA_EEEEvT1_mT2_T3_ ; -- Begin function _ZN7rocprim17ROCPRIM_304000_NS6detail16transform_kernelINS1_24wrapped_transform_configINS0_14default_configEN2at4cuda3cub6detail10OpaqueTypeILi8EEEEESA_PSA_SC_NS0_8identityISA_EEEEvT1_mT2_T3_
	.globl	_ZN7rocprim17ROCPRIM_304000_NS6detail16transform_kernelINS1_24wrapped_transform_configINS0_14default_configEN2at4cuda3cub6detail10OpaqueTypeILi8EEEEESA_PSA_SC_NS0_8identityISA_EEEEvT1_mT2_T3_
	.p2align	8
	.type	_ZN7rocprim17ROCPRIM_304000_NS6detail16transform_kernelINS1_24wrapped_transform_configINS0_14default_configEN2at4cuda3cub6detail10OpaqueTypeILi8EEEEESA_PSA_SC_NS0_8identityISA_EEEEvT1_mT2_T3_,@function
_ZN7rocprim17ROCPRIM_304000_NS6detail16transform_kernelINS1_24wrapped_transform_configINS0_14default_configEN2at4cuda3cub6detail10OpaqueTypeILi8EEEEESA_PSA_SC_NS0_8identityISA_EEEEvT1_mT2_T3_: ; @_ZN7rocprim17ROCPRIM_304000_NS6detail16transform_kernelINS1_24wrapped_transform_configINS0_14default_configEN2at4cuda3cub6detail10OpaqueTypeILi8EEEEESA_PSA_SC_NS0_8identityISA_EEEEvT1_mT2_T3_
; %bb.0:
	s_load_dword s7, s[4:5], 0x20
	s_load_dwordx4 s[0:3], s[4:5], 0x0
	s_lshl_b32 s8, s6, 9
	s_waitcnt lgkmcnt(0)
	s_add_i32 s7, s7, -1
	s_cmp_lg_u32 s6, s7
	s_cselect_b64 s[6:7], -1, 0
	s_sub_i32 s2, s2, s8
	v_cmp_gt_u32_e32 vcc, s2, v0
	s_or_b64 s[2:3], vcc, s[6:7]
	s_and_saveexec_b64 s[6:7], s[2:3]
	s_cbranch_execz .LBB6_2
; %bb.1:
	s_load_dwordx2 s[2:3], s[4:5], 0x10
	s_mov_b32 s9, 0
	s_lshl_b64 s[4:5], s[8:9], 3
	v_lshlrev_b32_e32 v2, 3, v0
	s_waitcnt lgkmcnt(0)
	s_add_u32 s2, s2, s4
	s_addc_u32 s3, s3, s5
	s_add_u32 s0, s0, s4
	s_addc_u32 s1, s1, s5
	global_load_dwordx2 v[0:1], v2, s[0:1]
	s_waitcnt vmcnt(0)
	global_store_dwordx2 v2, v[0:1], s[2:3]
.LBB6_2:
	s_endpgm
	.section	.rodata,"a",@progbits
	.p2align	6, 0x0
	.amdhsa_kernel _ZN7rocprim17ROCPRIM_304000_NS6detail16transform_kernelINS1_24wrapped_transform_configINS0_14default_configEN2at4cuda3cub6detail10OpaqueTypeILi8EEEEESA_PSA_SC_NS0_8identityISA_EEEEvT1_mT2_T3_
		.amdhsa_group_segment_fixed_size 0
		.amdhsa_private_segment_fixed_size 0
		.amdhsa_kernarg_size 288
		.amdhsa_user_sgpr_count 6
		.amdhsa_user_sgpr_private_segment_buffer 1
		.amdhsa_user_sgpr_dispatch_ptr 0
		.amdhsa_user_sgpr_queue_ptr 0
		.amdhsa_user_sgpr_kernarg_segment_ptr 1
		.amdhsa_user_sgpr_dispatch_id 0
		.amdhsa_user_sgpr_flat_scratch_init 0
		.amdhsa_user_sgpr_private_segment_size 0
		.amdhsa_uses_dynamic_stack 0
		.amdhsa_system_sgpr_private_segment_wavefront_offset 0
		.amdhsa_system_sgpr_workgroup_id_x 1
		.amdhsa_system_sgpr_workgroup_id_y 0
		.amdhsa_system_sgpr_workgroup_id_z 0
		.amdhsa_system_sgpr_workgroup_info 0
		.amdhsa_system_vgpr_workitem_id 0
		.amdhsa_next_free_vgpr 3
		.amdhsa_next_free_sgpr 10
		.amdhsa_reserve_vcc 1
		.amdhsa_reserve_flat_scratch 0
		.amdhsa_float_round_mode_32 0
		.amdhsa_float_round_mode_16_64 0
		.amdhsa_float_denorm_mode_32 3
		.amdhsa_float_denorm_mode_16_64 3
		.amdhsa_dx10_clamp 1
		.amdhsa_ieee_mode 1
		.amdhsa_fp16_overflow 0
		.amdhsa_exception_fp_ieee_invalid_op 0
		.amdhsa_exception_fp_denorm_src 0
		.amdhsa_exception_fp_ieee_div_zero 0
		.amdhsa_exception_fp_ieee_overflow 0
		.amdhsa_exception_fp_ieee_underflow 0
		.amdhsa_exception_fp_ieee_inexact 0
		.amdhsa_exception_int_div_zero 0
	.end_amdhsa_kernel
	.section	.text._ZN7rocprim17ROCPRIM_304000_NS6detail16transform_kernelINS1_24wrapped_transform_configINS0_14default_configEN2at4cuda3cub6detail10OpaqueTypeILi8EEEEESA_PSA_SC_NS0_8identityISA_EEEEvT1_mT2_T3_,"axG",@progbits,_ZN7rocprim17ROCPRIM_304000_NS6detail16transform_kernelINS1_24wrapped_transform_configINS0_14default_configEN2at4cuda3cub6detail10OpaqueTypeILi8EEEEESA_PSA_SC_NS0_8identityISA_EEEEvT1_mT2_T3_,comdat
.Lfunc_end6:
	.size	_ZN7rocprim17ROCPRIM_304000_NS6detail16transform_kernelINS1_24wrapped_transform_configINS0_14default_configEN2at4cuda3cub6detail10OpaqueTypeILi8EEEEESA_PSA_SC_NS0_8identityISA_EEEEvT1_mT2_T3_, .Lfunc_end6-_ZN7rocprim17ROCPRIM_304000_NS6detail16transform_kernelINS1_24wrapped_transform_configINS0_14default_configEN2at4cuda3cub6detail10OpaqueTypeILi8EEEEESA_PSA_SC_NS0_8identityISA_EEEEvT1_mT2_T3_
                                        ; -- End function
	.set _ZN7rocprim17ROCPRIM_304000_NS6detail16transform_kernelINS1_24wrapped_transform_configINS0_14default_configEN2at4cuda3cub6detail10OpaqueTypeILi8EEEEESA_PSA_SC_NS0_8identityISA_EEEEvT1_mT2_T3_.num_vgpr, 3
	.set _ZN7rocprim17ROCPRIM_304000_NS6detail16transform_kernelINS1_24wrapped_transform_configINS0_14default_configEN2at4cuda3cub6detail10OpaqueTypeILi8EEEEESA_PSA_SC_NS0_8identityISA_EEEEvT1_mT2_T3_.num_agpr, 0
	.set _ZN7rocprim17ROCPRIM_304000_NS6detail16transform_kernelINS1_24wrapped_transform_configINS0_14default_configEN2at4cuda3cub6detail10OpaqueTypeILi8EEEEESA_PSA_SC_NS0_8identityISA_EEEEvT1_mT2_T3_.numbered_sgpr, 10
	.set _ZN7rocprim17ROCPRIM_304000_NS6detail16transform_kernelINS1_24wrapped_transform_configINS0_14default_configEN2at4cuda3cub6detail10OpaqueTypeILi8EEEEESA_PSA_SC_NS0_8identityISA_EEEEvT1_mT2_T3_.num_named_barrier, 0
	.set _ZN7rocprim17ROCPRIM_304000_NS6detail16transform_kernelINS1_24wrapped_transform_configINS0_14default_configEN2at4cuda3cub6detail10OpaqueTypeILi8EEEEESA_PSA_SC_NS0_8identityISA_EEEEvT1_mT2_T3_.private_seg_size, 0
	.set _ZN7rocprim17ROCPRIM_304000_NS6detail16transform_kernelINS1_24wrapped_transform_configINS0_14default_configEN2at4cuda3cub6detail10OpaqueTypeILi8EEEEESA_PSA_SC_NS0_8identityISA_EEEEvT1_mT2_T3_.uses_vcc, 1
	.set _ZN7rocprim17ROCPRIM_304000_NS6detail16transform_kernelINS1_24wrapped_transform_configINS0_14default_configEN2at4cuda3cub6detail10OpaqueTypeILi8EEEEESA_PSA_SC_NS0_8identityISA_EEEEvT1_mT2_T3_.uses_flat_scratch, 0
	.set _ZN7rocprim17ROCPRIM_304000_NS6detail16transform_kernelINS1_24wrapped_transform_configINS0_14default_configEN2at4cuda3cub6detail10OpaqueTypeILi8EEEEESA_PSA_SC_NS0_8identityISA_EEEEvT1_mT2_T3_.has_dyn_sized_stack, 0
	.set _ZN7rocprim17ROCPRIM_304000_NS6detail16transform_kernelINS1_24wrapped_transform_configINS0_14default_configEN2at4cuda3cub6detail10OpaqueTypeILi8EEEEESA_PSA_SC_NS0_8identityISA_EEEEvT1_mT2_T3_.has_recursion, 0
	.set _ZN7rocprim17ROCPRIM_304000_NS6detail16transform_kernelINS1_24wrapped_transform_configINS0_14default_configEN2at4cuda3cub6detail10OpaqueTypeILi8EEEEESA_PSA_SC_NS0_8identityISA_EEEEvT1_mT2_T3_.has_indirect_call, 0
	.section	.AMDGPU.csdata,"",@progbits
; Kernel info:
; codeLenInByte = 120
; TotalNumSgprs: 14
; NumVgprs: 3
; ScratchSize: 0
; MemoryBound: 0
; FloatMode: 240
; IeeeMode: 1
; LDSByteSize: 0 bytes/workgroup (compile time only)
; SGPRBlocks: 1
; VGPRBlocks: 0
; NumSGPRsForWavesPerEU: 14
; NumVGPRsForWavesPerEU: 3
; Occupancy: 10
; WaveLimiterHint : 0
; COMPUTE_PGM_RSRC2:SCRATCH_EN: 0
; COMPUTE_PGM_RSRC2:USER_SGPR: 6
; COMPUTE_PGM_RSRC2:TRAP_HANDLER: 0
; COMPUTE_PGM_RSRC2:TGID_X_EN: 1
; COMPUTE_PGM_RSRC2:TGID_Y_EN: 0
; COMPUTE_PGM_RSRC2:TGID_Z_EN: 0
; COMPUTE_PGM_RSRC2:TIDIG_COMP_CNT: 0
	.section	.text._ZN7rocprim17ROCPRIM_304000_NS6detail45device_block_merge_mergepath_partition_kernelINS1_37wrapped_merge_sort_block_merge_configINS0_14default_configEmN2at4cuda3cub6detail10OpaqueTypeILi8EEEEEPmjNS1_19radix_merge_compareILb1ELb1EmNS0_19identity_decomposerEEEEEvT0_T1_jPSH_T2_SH_,"axG",@progbits,_ZN7rocprim17ROCPRIM_304000_NS6detail45device_block_merge_mergepath_partition_kernelINS1_37wrapped_merge_sort_block_merge_configINS0_14default_configEmN2at4cuda3cub6detail10OpaqueTypeILi8EEEEEPmjNS1_19radix_merge_compareILb1ELb1EmNS0_19identity_decomposerEEEEEvT0_T1_jPSH_T2_SH_,comdat
	.protected	_ZN7rocprim17ROCPRIM_304000_NS6detail45device_block_merge_mergepath_partition_kernelINS1_37wrapped_merge_sort_block_merge_configINS0_14default_configEmN2at4cuda3cub6detail10OpaqueTypeILi8EEEEEPmjNS1_19radix_merge_compareILb1ELb1EmNS0_19identity_decomposerEEEEEvT0_T1_jPSH_T2_SH_ ; -- Begin function _ZN7rocprim17ROCPRIM_304000_NS6detail45device_block_merge_mergepath_partition_kernelINS1_37wrapped_merge_sort_block_merge_configINS0_14default_configEmN2at4cuda3cub6detail10OpaqueTypeILi8EEEEEPmjNS1_19radix_merge_compareILb1ELb1EmNS0_19identity_decomposerEEEEEvT0_T1_jPSH_T2_SH_
	.globl	_ZN7rocprim17ROCPRIM_304000_NS6detail45device_block_merge_mergepath_partition_kernelINS1_37wrapped_merge_sort_block_merge_configINS0_14default_configEmN2at4cuda3cub6detail10OpaqueTypeILi8EEEEEPmjNS1_19radix_merge_compareILb1ELb1EmNS0_19identity_decomposerEEEEEvT0_T1_jPSH_T2_SH_
	.p2align	8
	.type	_ZN7rocprim17ROCPRIM_304000_NS6detail45device_block_merge_mergepath_partition_kernelINS1_37wrapped_merge_sort_block_merge_configINS0_14default_configEmN2at4cuda3cub6detail10OpaqueTypeILi8EEEEEPmjNS1_19radix_merge_compareILb1ELb1EmNS0_19identity_decomposerEEEEEvT0_T1_jPSH_T2_SH_,@function
_ZN7rocprim17ROCPRIM_304000_NS6detail45device_block_merge_mergepath_partition_kernelINS1_37wrapped_merge_sort_block_merge_configINS0_14default_configEmN2at4cuda3cub6detail10OpaqueTypeILi8EEEEEPmjNS1_19radix_merge_compareILb1ELb1EmNS0_19identity_decomposerEEEEEvT0_T1_jPSH_T2_SH_: ; @_ZN7rocprim17ROCPRIM_304000_NS6detail45device_block_merge_mergepath_partition_kernelINS1_37wrapped_merge_sort_block_merge_configINS0_14default_configEmN2at4cuda3cub6detail10OpaqueTypeILi8EEEEEPmjNS1_19radix_merge_compareILb1ELb1EmNS0_19identity_decomposerEEEEEvT0_T1_jPSH_T2_SH_
; %bb.0:
	s_load_dwordx2 s[8:9], s[4:5], 0x8
	v_lshl_or_b32 v0, s6, 7, v0
	s_waitcnt lgkmcnt(0)
	v_cmp_gt_u32_e32 vcc, s9, v0
	s_and_saveexec_b64 s[0:1], vcc
	s_cbranch_execz .LBB7_6
; %bb.1:
	s_load_dword s6, s[4:5], 0x20
	s_load_dwordx4 s[0:3], s[4:5], 0x10
	s_waitcnt lgkmcnt(0)
	s_lshr_b32 s7, s6, 9
	s_and_b32 s7, s7, 0x7ffffe
	s_add_i32 s9, s7, -1
	s_sub_i32 s7, 0, s7
	v_and_b32_e32 v1, s7, v0
	v_lshlrev_b32_e32 v3, 10, v1
	v_min_u32_e32 v1, s8, v3
	v_add_u32_e32 v3, s6, v3
	v_min_u32_e32 v3, s8, v3
	v_add_u32_e32 v4, s6, v3
	v_and_b32_e32 v2, s9, v0
	v_min_u32_e32 v4, s8, v4
	v_sub_u32_e32 v5, v4, v1
	v_lshlrev_b32_e32 v2, 10, v2
	v_min_u32_e32 v6, v5, v2
	v_sub_u32_e32 v2, v3, v1
	v_sub_u32_e32 v4, v4, v3
	v_sub_u32_e64 v5, v6, v4 clamp
	v_min_u32_e32 v7, v6, v2
	v_cmp_lt_u32_e32 vcc, v5, v7
	s_and_saveexec_b64 s[6:7], vcc
	s_cbranch_execz .LBB7_5
; %bb.2:
	s_load_dwordx2 s[4:5], s[4:5], 0x0
	v_mov_b32_e32 v4, 0
	v_mov_b32_e32 v2, v4
	v_lshlrev_b64 v[8:9], 3, v[1:2]
	s_waitcnt lgkmcnt(0)
	v_mov_b32_e32 v11, s5
	v_add_co_u32_e32 v2, vcc, s4, v8
	v_addc_co_u32_e32 v8, vcc, v11, v9, vcc
	v_lshlrev_b64 v[9:10], 3, v[3:4]
	v_add_co_u32_e32 v9, vcc, s4, v9
	v_addc_co_u32_e32 v10, vcc, v11, v10, vcc
	s_mov_b64 s[4:5], 0
.LBB7_3:                                ; =>This Inner Loop Header: Depth=1
	v_add_u32_e32 v3, v7, v5
	v_lshrrev_b32_e32 v3, 1, v3
	v_lshlrev_b64 v[13:14], 3, v[3:4]
	v_mov_b32_e32 v12, v4
	v_xad_u32 v11, v3, -1, v6
	v_lshlrev_b64 v[11:12], 3, v[11:12]
	v_add_co_u32_e32 v13, vcc, v2, v13
	v_addc_co_u32_e32 v14, vcc, v8, v14, vcc
	v_add_co_u32_e32 v11, vcc, v9, v11
	v_addc_co_u32_e32 v12, vcc, v10, v12, vcc
	global_load_dwordx2 v[13:14], v[13:14], off
	v_add_u32_e32 v15, 1, v3
	global_load_dwordx2 v[11:12], v[11:12], off
	s_waitcnt vmcnt(1)
	v_and_b32_e32 v14, s3, v14
	v_and_b32_e32 v13, s2, v13
	s_waitcnt vmcnt(0)
	v_and_b32_e32 v12, s3, v12
	v_and_b32_e32 v11, s2, v11
	v_cmp_gt_u64_e32 vcc, v[11:12], v[13:14]
	v_cndmask_b32_e32 v7, v7, v3, vcc
	v_cndmask_b32_e32 v5, v15, v5, vcc
	v_cmp_ge_u32_e32 vcc, v5, v7
	s_or_b64 s[4:5], vcc, s[4:5]
	s_andn2_b64 exec, exec, s[4:5]
	s_cbranch_execnz .LBB7_3
; %bb.4:
	s_or_b64 exec, exec, s[4:5]
.LBB7_5:
	s_or_b64 exec, exec, s[6:7]
	v_add_u32_e32 v2, v5, v1
	v_mov_b32_e32 v1, 0
	v_lshlrev_b64 v[0:1], 2, v[0:1]
	v_mov_b32_e32 v3, s1
	v_add_co_u32_e32 v0, vcc, s0, v0
	v_addc_co_u32_e32 v1, vcc, v3, v1, vcc
	global_store_dword v[0:1], v2, off
.LBB7_6:
	s_endpgm
	.section	.rodata,"a",@progbits
	.p2align	6, 0x0
	.amdhsa_kernel _ZN7rocprim17ROCPRIM_304000_NS6detail45device_block_merge_mergepath_partition_kernelINS1_37wrapped_merge_sort_block_merge_configINS0_14default_configEmN2at4cuda3cub6detail10OpaqueTypeILi8EEEEEPmjNS1_19radix_merge_compareILb1ELb1EmNS0_19identity_decomposerEEEEEvT0_T1_jPSH_T2_SH_
		.amdhsa_group_segment_fixed_size 0
		.amdhsa_private_segment_fixed_size 0
		.amdhsa_kernarg_size 36
		.amdhsa_user_sgpr_count 6
		.amdhsa_user_sgpr_private_segment_buffer 1
		.amdhsa_user_sgpr_dispatch_ptr 0
		.amdhsa_user_sgpr_queue_ptr 0
		.amdhsa_user_sgpr_kernarg_segment_ptr 1
		.amdhsa_user_sgpr_dispatch_id 0
		.amdhsa_user_sgpr_flat_scratch_init 0
		.amdhsa_user_sgpr_private_segment_size 0
		.amdhsa_uses_dynamic_stack 0
		.amdhsa_system_sgpr_private_segment_wavefront_offset 0
		.amdhsa_system_sgpr_workgroup_id_x 1
		.amdhsa_system_sgpr_workgroup_id_y 0
		.amdhsa_system_sgpr_workgroup_id_z 0
		.amdhsa_system_sgpr_workgroup_info 0
		.amdhsa_system_vgpr_workitem_id 0
		.amdhsa_next_free_vgpr 16
		.amdhsa_next_free_sgpr 10
		.amdhsa_reserve_vcc 1
		.amdhsa_reserve_flat_scratch 0
		.amdhsa_float_round_mode_32 0
		.amdhsa_float_round_mode_16_64 0
		.amdhsa_float_denorm_mode_32 3
		.amdhsa_float_denorm_mode_16_64 3
		.amdhsa_dx10_clamp 1
		.amdhsa_ieee_mode 1
		.amdhsa_fp16_overflow 0
		.amdhsa_exception_fp_ieee_invalid_op 0
		.amdhsa_exception_fp_denorm_src 0
		.amdhsa_exception_fp_ieee_div_zero 0
		.amdhsa_exception_fp_ieee_overflow 0
		.amdhsa_exception_fp_ieee_underflow 0
		.amdhsa_exception_fp_ieee_inexact 0
		.amdhsa_exception_int_div_zero 0
	.end_amdhsa_kernel
	.section	.text._ZN7rocprim17ROCPRIM_304000_NS6detail45device_block_merge_mergepath_partition_kernelINS1_37wrapped_merge_sort_block_merge_configINS0_14default_configEmN2at4cuda3cub6detail10OpaqueTypeILi8EEEEEPmjNS1_19radix_merge_compareILb1ELb1EmNS0_19identity_decomposerEEEEEvT0_T1_jPSH_T2_SH_,"axG",@progbits,_ZN7rocprim17ROCPRIM_304000_NS6detail45device_block_merge_mergepath_partition_kernelINS1_37wrapped_merge_sort_block_merge_configINS0_14default_configEmN2at4cuda3cub6detail10OpaqueTypeILi8EEEEEPmjNS1_19radix_merge_compareILb1ELb1EmNS0_19identity_decomposerEEEEEvT0_T1_jPSH_T2_SH_,comdat
.Lfunc_end7:
	.size	_ZN7rocprim17ROCPRIM_304000_NS6detail45device_block_merge_mergepath_partition_kernelINS1_37wrapped_merge_sort_block_merge_configINS0_14default_configEmN2at4cuda3cub6detail10OpaqueTypeILi8EEEEEPmjNS1_19radix_merge_compareILb1ELb1EmNS0_19identity_decomposerEEEEEvT0_T1_jPSH_T2_SH_, .Lfunc_end7-_ZN7rocprim17ROCPRIM_304000_NS6detail45device_block_merge_mergepath_partition_kernelINS1_37wrapped_merge_sort_block_merge_configINS0_14default_configEmN2at4cuda3cub6detail10OpaqueTypeILi8EEEEEPmjNS1_19radix_merge_compareILb1ELb1EmNS0_19identity_decomposerEEEEEvT0_T1_jPSH_T2_SH_
                                        ; -- End function
	.set _ZN7rocprim17ROCPRIM_304000_NS6detail45device_block_merge_mergepath_partition_kernelINS1_37wrapped_merge_sort_block_merge_configINS0_14default_configEmN2at4cuda3cub6detail10OpaqueTypeILi8EEEEEPmjNS1_19radix_merge_compareILb1ELb1EmNS0_19identity_decomposerEEEEEvT0_T1_jPSH_T2_SH_.num_vgpr, 16
	.set _ZN7rocprim17ROCPRIM_304000_NS6detail45device_block_merge_mergepath_partition_kernelINS1_37wrapped_merge_sort_block_merge_configINS0_14default_configEmN2at4cuda3cub6detail10OpaqueTypeILi8EEEEEPmjNS1_19radix_merge_compareILb1ELb1EmNS0_19identity_decomposerEEEEEvT0_T1_jPSH_T2_SH_.num_agpr, 0
	.set _ZN7rocprim17ROCPRIM_304000_NS6detail45device_block_merge_mergepath_partition_kernelINS1_37wrapped_merge_sort_block_merge_configINS0_14default_configEmN2at4cuda3cub6detail10OpaqueTypeILi8EEEEEPmjNS1_19radix_merge_compareILb1ELb1EmNS0_19identity_decomposerEEEEEvT0_T1_jPSH_T2_SH_.numbered_sgpr, 10
	.set _ZN7rocprim17ROCPRIM_304000_NS6detail45device_block_merge_mergepath_partition_kernelINS1_37wrapped_merge_sort_block_merge_configINS0_14default_configEmN2at4cuda3cub6detail10OpaqueTypeILi8EEEEEPmjNS1_19radix_merge_compareILb1ELb1EmNS0_19identity_decomposerEEEEEvT0_T1_jPSH_T2_SH_.num_named_barrier, 0
	.set _ZN7rocprim17ROCPRIM_304000_NS6detail45device_block_merge_mergepath_partition_kernelINS1_37wrapped_merge_sort_block_merge_configINS0_14default_configEmN2at4cuda3cub6detail10OpaqueTypeILi8EEEEEPmjNS1_19radix_merge_compareILb1ELb1EmNS0_19identity_decomposerEEEEEvT0_T1_jPSH_T2_SH_.private_seg_size, 0
	.set _ZN7rocprim17ROCPRIM_304000_NS6detail45device_block_merge_mergepath_partition_kernelINS1_37wrapped_merge_sort_block_merge_configINS0_14default_configEmN2at4cuda3cub6detail10OpaqueTypeILi8EEEEEPmjNS1_19radix_merge_compareILb1ELb1EmNS0_19identity_decomposerEEEEEvT0_T1_jPSH_T2_SH_.uses_vcc, 1
	.set _ZN7rocprim17ROCPRIM_304000_NS6detail45device_block_merge_mergepath_partition_kernelINS1_37wrapped_merge_sort_block_merge_configINS0_14default_configEmN2at4cuda3cub6detail10OpaqueTypeILi8EEEEEPmjNS1_19radix_merge_compareILb1ELb1EmNS0_19identity_decomposerEEEEEvT0_T1_jPSH_T2_SH_.uses_flat_scratch, 0
	.set _ZN7rocprim17ROCPRIM_304000_NS6detail45device_block_merge_mergepath_partition_kernelINS1_37wrapped_merge_sort_block_merge_configINS0_14default_configEmN2at4cuda3cub6detail10OpaqueTypeILi8EEEEEPmjNS1_19radix_merge_compareILb1ELb1EmNS0_19identity_decomposerEEEEEvT0_T1_jPSH_T2_SH_.has_dyn_sized_stack, 0
	.set _ZN7rocprim17ROCPRIM_304000_NS6detail45device_block_merge_mergepath_partition_kernelINS1_37wrapped_merge_sort_block_merge_configINS0_14default_configEmN2at4cuda3cub6detail10OpaqueTypeILi8EEEEEPmjNS1_19radix_merge_compareILb1ELb1EmNS0_19identity_decomposerEEEEEvT0_T1_jPSH_T2_SH_.has_recursion, 0
	.set _ZN7rocprim17ROCPRIM_304000_NS6detail45device_block_merge_mergepath_partition_kernelINS1_37wrapped_merge_sort_block_merge_configINS0_14default_configEmN2at4cuda3cub6detail10OpaqueTypeILi8EEEEEPmjNS1_19radix_merge_compareILb1ELb1EmNS0_19identity_decomposerEEEEEvT0_T1_jPSH_T2_SH_.has_indirect_call, 0
	.section	.AMDGPU.csdata,"",@progbits
; Kernel info:
; codeLenInByte = 380
; TotalNumSgprs: 14
; NumVgprs: 16
; ScratchSize: 0
; MemoryBound: 0
; FloatMode: 240
; IeeeMode: 1
; LDSByteSize: 0 bytes/workgroup (compile time only)
; SGPRBlocks: 1
; VGPRBlocks: 3
; NumSGPRsForWavesPerEU: 14
; NumVGPRsForWavesPerEU: 16
; Occupancy: 10
; WaveLimiterHint : 0
; COMPUTE_PGM_RSRC2:SCRATCH_EN: 0
; COMPUTE_PGM_RSRC2:USER_SGPR: 6
; COMPUTE_PGM_RSRC2:TRAP_HANDLER: 0
; COMPUTE_PGM_RSRC2:TGID_X_EN: 1
; COMPUTE_PGM_RSRC2:TGID_Y_EN: 0
; COMPUTE_PGM_RSRC2:TGID_Z_EN: 0
; COMPUTE_PGM_RSRC2:TIDIG_COMP_CNT: 0
	.section	.text._ZN7rocprim17ROCPRIM_304000_NS6detail35device_block_merge_mergepath_kernelINS1_37wrapped_merge_sort_block_merge_configINS0_14default_configEmN2at4cuda3cub6detail10OpaqueTypeILi8EEEEEPmSC_PSA_SD_jNS1_19radix_merge_compareILb1ELb1EmNS0_19identity_decomposerEEEEEvT0_T1_T2_T3_T4_SL_jT5_PKSL_NS1_7vsmem_tE,"axG",@progbits,_ZN7rocprim17ROCPRIM_304000_NS6detail35device_block_merge_mergepath_kernelINS1_37wrapped_merge_sort_block_merge_configINS0_14default_configEmN2at4cuda3cub6detail10OpaqueTypeILi8EEEEEPmSC_PSA_SD_jNS1_19radix_merge_compareILb1ELb1EmNS0_19identity_decomposerEEEEEvT0_T1_T2_T3_T4_SL_jT5_PKSL_NS1_7vsmem_tE,comdat
	.protected	_ZN7rocprim17ROCPRIM_304000_NS6detail35device_block_merge_mergepath_kernelINS1_37wrapped_merge_sort_block_merge_configINS0_14default_configEmN2at4cuda3cub6detail10OpaqueTypeILi8EEEEEPmSC_PSA_SD_jNS1_19radix_merge_compareILb1ELb1EmNS0_19identity_decomposerEEEEEvT0_T1_T2_T3_T4_SL_jT5_PKSL_NS1_7vsmem_tE ; -- Begin function _ZN7rocprim17ROCPRIM_304000_NS6detail35device_block_merge_mergepath_kernelINS1_37wrapped_merge_sort_block_merge_configINS0_14default_configEmN2at4cuda3cub6detail10OpaqueTypeILi8EEEEEPmSC_PSA_SD_jNS1_19radix_merge_compareILb1ELb1EmNS0_19identity_decomposerEEEEEvT0_T1_T2_T3_T4_SL_jT5_PKSL_NS1_7vsmem_tE
	.globl	_ZN7rocprim17ROCPRIM_304000_NS6detail35device_block_merge_mergepath_kernelINS1_37wrapped_merge_sort_block_merge_configINS0_14default_configEmN2at4cuda3cub6detail10OpaqueTypeILi8EEEEEPmSC_PSA_SD_jNS1_19radix_merge_compareILb1ELb1EmNS0_19identity_decomposerEEEEEvT0_T1_T2_T3_T4_SL_jT5_PKSL_NS1_7vsmem_tE
	.p2align	8
	.type	_ZN7rocprim17ROCPRIM_304000_NS6detail35device_block_merge_mergepath_kernelINS1_37wrapped_merge_sort_block_merge_configINS0_14default_configEmN2at4cuda3cub6detail10OpaqueTypeILi8EEEEEPmSC_PSA_SD_jNS1_19radix_merge_compareILb1ELb1EmNS0_19identity_decomposerEEEEEvT0_T1_T2_T3_T4_SL_jT5_PKSL_NS1_7vsmem_tE,@function
_ZN7rocprim17ROCPRIM_304000_NS6detail35device_block_merge_mergepath_kernelINS1_37wrapped_merge_sort_block_merge_configINS0_14default_configEmN2at4cuda3cub6detail10OpaqueTypeILi8EEEEEPmSC_PSA_SD_jNS1_19radix_merge_compareILb1ELb1EmNS0_19identity_decomposerEEEEEvT0_T1_T2_T3_T4_SL_jT5_PKSL_NS1_7vsmem_tE: ; @_ZN7rocprim17ROCPRIM_304000_NS6detail35device_block_merge_mergepath_kernelINS1_37wrapped_merge_sort_block_merge_configINS0_14default_configEmN2at4cuda3cub6detail10OpaqueTypeILi8EEEEEPmSC_PSA_SD_jNS1_19radix_merge_compareILb1ELb1EmNS0_19identity_decomposerEEEEEvT0_T1_T2_T3_T4_SL_jT5_PKSL_NS1_7vsmem_tE
; %bb.0:
	s_load_dwordx2 s[34:35], s[4:5], 0x48
	s_load_dwordx4 s[16:19], s[4:5], 0x20
	s_add_u32 s2, s4, 0x48
	s_addc_u32 s3, s5, 0
	s_waitcnt lgkmcnt(0)
	s_mul_i32 s0, s35, s8
	s_add_i32 s0, s0, s7
	s_mul_i32 s0, s0, s34
	s_add_i32 s0, s0, s6
	s_cmp_ge_u32 s0, s18
	s_cbranch_scc1 .LBB8_103
; %bb.1:
	s_load_dwordx8 s[8:15], s[4:5], 0x0
	s_load_dwordx4 s[20:23], s[4:5], 0x30
	s_lshr_b32 s35, s16, 10
	s_cmp_lg_u32 s0, s35
	s_mov_b32 s1, 0
	s_cselect_b64 s[24:25], -1, 0
	s_lshl_b64 s[4:5], s[0:1], 2
	s_waitcnt lgkmcnt(0)
	s_add_u32 s4, s22, s4
	s_addc_u32 s5, s23, s5
	s_load_dwordx2 s[22:23], s[4:5], 0x0
	s_lshr_b32 s4, s17, 9
	s_and_b32 s4, s4, 0x7ffffe
	s_sub_i32 s4, 0, s4
	s_and_b32 s5, s0, s4
	s_lshl_b32 s7, s5, 10
	s_lshl_b32 s18, s0, 10
	;; [unrolled: 1-line block ×3, first 2 shown]
	s_sub_i32 s19, s18, s7
	s_add_i32 s5, s5, s17
	s_add_i32 s19, s5, s19
	s_waitcnt lgkmcnt(0)
	s_sub_i32 s26, s19, s22
	s_sub_i32 s19, s19, s23
	;; [unrolled: 1-line block ×3, first 2 shown]
	s_min_u32 s26, s16, s26
	s_addk_i32 s19, 0x400
	s_or_b32 s4, s0, s4
	s_min_u32 s7, s16, s5
	s_add_i32 s5, s5, s17
	s_cmp_eq_u32 s4, -1
	s_cselect_b32 s4, s5, s19
	s_cselect_b32 s5, s7, s23
	s_min_u32 s4, s4, s16
	s_mov_b32 s23, s1
	s_sub_i32 s19, s5, s22
	s_sub_i32 s33, s4, s26
	s_lshl_b64 s[28:29], s[22:23], 3
	s_add_u32 s5, s8, s28
	s_mov_b32 s27, s1
	s_addc_u32 s7, s9, s29
	s_lshl_b64 s[30:31], s[26:27], 3
	s_add_u32 s4, s8, s30
	v_mov_b32_e32 v19, 0
	global_load_dword v1, v19, s[2:3] offset:14
	s_addc_u32 s8, s9, s31
	s_cmp_lt_u32 s6, s34
	s_cselect_b32 s1, 12, 18
	s_add_u32 s2, s2, s1
	s_addc_u32 s3, s3, 0
	global_load_ushort v2, v19, s[2:3]
	s_cmp_eq_u32 s0, s35
	v_cmp_gt_u32_e32 vcc, s19, v0
	v_lshlrev_b32_e32 v21, 3, v0
	s_waitcnt vmcnt(1)
	v_lshrrev_b32_e32 v3, 16, v1
	v_and_b32_e32 v1, 0xffff, v1
	v_mul_lo_u32 v1, v1, v3
	s_waitcnt vmcnt(0)
	v_mul_lo_u32 v20, v1, v2
	v_add_u32_e32 v18, v20, v0
	s_cbranch_scc1 .LBB8_3
; %bb.2:
	v_mov_b32_e32 v1, s7
	v_add_co_u32_e64 v3, s[0:1], s5, v21
	v_subrev_u32_e32 v2, s19, v0
	v_addc_co_u32_e64 v1, s[0:1], 0, v1, s[0:1]
	v_lshlrev_b32_e32 v2, 3, v2
	v_mov_b32_e32 v4, s8
	v_add_co_u32_e64 v5, s[0:1], s4, v2
	v_addc_co_u32_e64 v2, s[0:1], 0, v4, s[0:1]
	v_cndmask_b32_e32 v2, v2, v1, vcc
	v_cndmask_b32_e32 v1, v5, v3, vcc
	v_lshlrev_b64 v[3:4], 3, v[18:19]
	v_mov_b32_e32 v5, s7
	v_add_co_u32_e32 v6, vcc, s5, v3
	v_addc_co_u32_e32 v5, vcc, v5, v4, vcc
	v_subrev_co_u32_e32 v3, vcc, s19, v18
	v_mov_b32_e32 v4, v19
	v_lshlrev_b64 v[3:4], 3, v[3:4]
	v_mov_b32_e32 v7, s8
	v_add_co_u32_e64 v3, s[0:1], s4, v3
	v_addc_co_u32_e64 v4, s[0:1], v7, v4, s[0:1]
	v_add_u32_e32 v7, v18, v20
	v_mov_b32_e32 v8, v19
	v_cndmask_b32_e32 v4, v4, v5, vcc
	v_cndmask_b32_e32 v3, v3, v6, vcc
	v_lshlrev_b64 v[5:6], 3, v[7:8]
	v_mov_b32_e32 v8, s7
	v_add_co_u32_e32 v9, vcc, s5, v5
	v_addc_co_u32_e32 v8, vcc, v8, v6, vcc
	v_subrev_co_u32_e32 v5, vcc, s19, v7
	v_mov_b32_e32 v6, v19
	v_lshlrev_b64 v[5:6], 3, v[5:6]
	v_mov_b32_e32 v10, s8
	v_add_co_u32_e64 v5, s[0:1], s4, v5
	v_addc_co_u32_e64 v6, s[0:1], v10, v6, s[0:1]
	v_cndmask_b32_e32 v5, v5, v9, vcc
	v_add_u32_e32 v9, v7, v20
	v_mov_b32_e32 v10, v19
	v_cndmask_b32_e32 v6, v6, v8, vcc
	v_lshlrev_b64 v[7:8], 3, v[9:10]
	v_mov_b32_e32 v10, s7
	v_add_co_u32_e32 v11, vcc, s5, v7
	v_addc_co_u32_e32 v10, vcc, v10, v8, vcc
	v_subrev_co_u32_e32 v7, vcc, s19, v9
	v_mov_b32_e32 v8, v19
	v_lshlrev_b64 v[7:8], 3, v[7:8]
	v_mov_b32_e32 v12, s8
	v_add_co_u32_e64 v7, s[0:1], s4, v7
	v_addc_co_u32_e64 v8, s[0:1], v12, v8, s[0:1]
	v_cndmask_b32_e32 v7, v7, v11, vcc
	v_add_u32_e32 v11, v9, v20
	v_mov_b32_e32 v12, v19
	;; [unrolled: 14-line block ×5, first 2 shown]
	v_cndmask_b32_e32 v13, v13, v17, vcc
	v_lshlrev_b64 v[16:17], 3, v[15:16]
	v_mov_b32_e32 v22, s7
	v_add_co_u32_e32 v23, vcc, s5, v16
	v_addc_co_u32_e32 v17, vcc, v22, v17, vcc
	v_subrev_co_u32_e32 v15, vcc, s19, v15
	v_mov_b32_e32 v16, v19
	v_lshlrev_b64 v[15:16], 3, v[15:16]
	v_mov_b32_e32 v19, s8
	v_add_co_u32_e64 v15, s[0:1], s4, v15
	v_addc_co_u32_e64 v16, s[0:1], v19, v16, s[0:1]
	v_cndmask_b32_e32 v16, v16, v17, vcc
	v_cndmask_b32_e32 v15, v15, v23, vcc
	global_load_dwordx2 v[1:2], v[1:2], off
	s_add_i32 s17, s33, s19
	global_load_dwordx2 v[3:4], v[3:4], off
	s_nop 0
	global_load_dwordx2 v[5:6], v[5:6], off
	s_nop 0
	;; [unrolled: 2-line block ×6, first 2 shown]
	global_load_dwordx2 v[15:16], v[15:16], off
	s_cbranch_execz .LBB8_4
	s_branch .LBB8_21
.LBB8_3:
                                        ; implicit-def: $vgpr1_vgpr2_vgpr3_vgpr4_vgpr5_vgpr6_vgpr7_vgpr8_vgpr9_vgpr10_vgpr11_vgpr12_vgpr13_vgpr14_vgpr15_vgpr16
                                        ; implicit-def: $sgpr17
.LBB8_4:
	s_add_i32 s17, s33, s19
	s_waitcnt vmcnt(7)
	v_mov_b32_e32 v1, 0
	v_cmp_gt_u32_e32 vcc, s17, v0
	v_mov_b32_e32 v2, v1
	s_waitcnt vmcnt(6)
	v_mov_b32_e32 v3, v1
	v_mov_b32_e32 v4, v1
	s_waitcnt vmcnt(5)
	v_mov_b32_e32 v5, v1
	v_mov_b32_e32 v6, v1
	s_waitcnt vmcnt(4)
	v_mov_b32_e32 v7, v1
	v_mov_b32_e32 v8, v1
	s_waitcnt vmcnt(3)
	v_mov_b32_e32 v9, v1
	v_mov_b32_e32 v10, v1
	s_waitcnt vmcnt(2)
	v_mov_b32_e32 v11, v1
	v_mov_b32_e32 v12, v1
	s_waitcnt vmcnt(1)
	v_mov_b32_e32 v13, v1
	v_mov_b32_e32 v14, v1
	s_waitcnt vmcnt(0)
	v_mov_b32_e32 v15, v1
	v_mov_b32_e32 v16, v1
	s_and_saveexec_b64 s[0:1], vcc
	s_cbranch_execz .LBB8_6
; %bb.5:
	v_mov_b32_e32 v2, s7
	v_add_co_u32_e32 v4, vcc, s5, v21
	v_subrev_u32_e32 v3, s19, v0
	v_addc_co_u32_e32 v2, vcc, 0, v2, vcc
	v_lshlrev_b32_e32 v3, 3, v3
	v_mov_b32_e32 v5, s8
	v_add_co_u32_e32 v6, vcc, s4, v3
	v_addc_co_u32_e32 v3, vcc, 0, v5, vcc
	v_cmp_gt_u32_e32 vcc, s19, v0
	v_cndmask_b32_e32 v3, v3, v2, vcc
	v_cndmask_b32_e32 v2, v6, v4, vcc
	global_load_dwordx2 v[2:3], v[2:3], off
	v_mov_b32_e32 v4, v1
	v_mov_b32_e32 v5, v1
	;; [unrolled: 1-line block ×14, first 2 shown]
	s_waitcnt vmcnt(0)
	v_mov_b32_e32 v1, v2
	v_mov_b32_e32 v2, v3
	;; [unrolled: 1-line block ×16, first 2 shown]
.LBB8_6:
	s_or_b64 exec, exec, s[0:1]
	v_cmp_gt_u32_e32 vcc, s17, v18
	s_and_saveexec_b64 s[2:3], vcc
	s_cbranch_execz .LBB8_8
; %bb.7:
	v_mov_b32_e32 v19, 0
	v_lshlrev_b64 v[3:4], 3, v[18:19]
	v_mov_b32_e32 v17, s7
	v_add_co_u32_e32 v22, vcc, s5, v3
	v_addc_co_u32_e32 v17, vcc, v17, v4, vcc
	v_subrev_co_u32_e32 v3, vcc, s19, v18
	v_mov_b32_e32 v4, v19
	v_lshlrev_b64 v[3:4], 3, v[3:4]
	v_mov_b32_e32 v19, s8
	v_add_co_u32_e64 v3, s[0:1], s4, v3
	v_addc_co_u32_e64 v4, s[0:1], v19, v4, s[0:1]
	v_cndmask_b32_e32 v4, v4, v17, vcc
	v_cndmask_b32_e32 v3, v3, v22, vcc
	global_load_dwordx2 v[3:4], v[3:4], off
.LBB8_8:
	s_or_b64 exec, exec, s[2:3]
	v_add_u32_e32 v17, v18, v20
	v_cmp_gt_u32_e32 vcc, s17, v17
	s_and_saveexec_b64 s[2:3], vcc
	s_cbranch_execz .LBB8_10
; %bb.9:
	v_mov_b32_e32 v18, 0
	v_lshlrev_b64 v[5:6], 3, v[17:18]
	v_mov_b32_e32 v19, s7
	v_add_co_u32_e32 v22, vcc, s5, v5
	v_addc_co_u32_e32 v19, vcc, v19, v6, vcc
	v_subrev_co_u32_e32 v5, vcc, s19, v17
	v_mov_b32_e32 v6, v18
	v_lshlrev_b64 v[5:6], 3, v[5:6]
	v_mov_b32_e32 v18, s8
	v_add_co_u32_e64 v5, s[0:1], s4, v5
	v_addc_co_u32_e64 v6, s[0:1], v18, v6, s[0:1]
	v_cndmask_b32_e32 v6, v6, v19, vcc
	v_cndmask_b32_e32 v5, v5, v22, vcc
	global_load_dwordx2 v[5:6], v[5:6], off
.LBB8_10:
	s_or_b64 exec, exec, s[2:3]
	v_add_u32_e32 v17, v17, v20
	;; [unrolled: 21-line block ×6, first 2 shown]
	v_cmp_gt_u32_e32 vcc, s17, v17
	s_and_saveexec_b64 s[2:3], vcc
	s_cbranch_execz .LBB8_20
; %bb.19:
	v_mov_b32_e32 v18, 0
	v_lshlrev_b64 v[15:16], 3, v[17:18]
	v_mov_b32_e32 v19, s7
	v_add_co_u32_e32 v20, vcc, s5, v15
	v_addc_co_u32_e32 v19, vcc, v19, v16, vcc
	v_subrev_co_u32_e32 v17, vcc, s19, v17
	v_lshlrev_b64 v[15:16], 3, v[17:18]
	v_mov_b32_e32 v17, s8
	v_add_co_u32_e64 v15, s[0:1], s4, v15
	v_addc_co_u32_e64 v16, s[0:1], v17, v16, s[0:1]
	v_cndmask_b32_e32 v16, v16, v19, vcc
	v_cndmask_b32_e32 v15, v15, v20, vcc
	global_load_dwordx2 v[15:16], v[15:16], off
.LBB8_20:
	s_or_b64 exec, exec, s[2:3]
.LBB8_21:
	v_min_u32_e32 v18, s17, v21
	v_sub_u32_e64 v17, v18, s33 clamp
	v_min_u32_e32 v19, s19, v18
	v_cmp_lt_u32_e32 vcc, v17, v19
	s_waitcnt vmcnt(0)
	ds_write2st64_b64 v21, v[1:2], v[3:4] offset1:2
	ds_write2st64_b64 v21, v[5:6], v[7:8] offset0:4 offset1:6
	ds_write2st64_b64 v21, v[9:10], v[11:12] offset0:8 offset1:10
	;; [unrolled: 1-line block ×3, first 2 shown]
	s_waitcnt lgkmcnt(0)
	s_barrier
	s_and_saveexec_b64 s[0:1], vcc
	s_cbranch_execz .LBB8_25
; %bb.22:
	v_lshlrev_b32_e32 v20, 3, v18
	v_lshl_add_u32 v20, s19, 3, v20
	s_mov_b64 s[2:3], 0
.LBB8_23:                               ; =>This Inner Loop Header: Depth=1
	v_add_u32_e32 v22, v19, v17
	v_lshrrev_b32_e32 v26, 1, v22
	v_not_b32_e32 v24, v26
	v_lshlrev_b32_e32 v22, 3, v26
	v_lshl_add_u32 v24, v24, 3, v20
	ds_read_b64 v[22:23], v22
	ds_read_b64 v[24:25], v24
	v_add_u32_e32 v27, 1, v26
	s_waitcnt lgkmcnt(1)
	v_and_b32_e32 v23, s21, v23
	v_and_b32_e32 v22, s20, v22
	s_waitcnt lgkmcnt(0)
	v_and_b32_e32 v25, s21, v25
	v_and_b32_e32 v24, s20, v24
	v_cmp_gt_u64_e32 vcc, v[24:25], v[22:23]
	v_cndmask_b32_e32 v19, v19, v26, vcc
	v_cndmask_b32_e32 v17, v27, v17, vcc
	v_cmp_ge_u32_e32 vcc, v17, v19
	s_or_b64 s[2:3], vcc, s[2:3]
	s_andn2_b64 exec, exec, s[2:3]
	s_cbranch_execnz .LBB8_23
; %bb.24:
	s_or_b64 exec, exec, s[2:3]
.LBB8_25:
	s_or_b64 exec, exec, s[0:1]
	v_sub_u32_e32 v18, v18, v17
	v_add_u32_e32 v18, s19, v18
	v_cmp_ge_u32_e32 vcc, s19, v17
	v_cmp_ge_u32_e64 s[0:1], s17, v18
	s_or_b64 s[0:1], vcc, s[0:1]
	v_mov_b32_e32 v22, 0
	v_mov_b32_e32 v23, 0
	;; [unrolled: 1-line block ×8, first 2 shown]
	s_and_saveexec_b64 s[34:35], s[0:1]
	s_cbranch_execz .LBB8_31
; %bb.26:
	v_cmp_gt_u32_e32 vcc, s19, v17
                                        ; implicit-def: $vgpr1_vgpr2
	s_and_saveexec_b64 s[0:1], vcc
; %bb.27:
	v_lshlrev_b32_e32 v1, 3, v17
	ds_read_b64 v[1:2], v1
; %bb.28:
	s_or_b64 exec, exec, s[0:1]
	v_cmp_le_u32_e64 s[0:1], s17, v18
	v_cmp_gt_u32_e64 s[2:3], s17, v18
                                        ; implicit-def: $vgpr3_vgpr4
	s_and_saveexec_b64 s[4:5], s[2:3]
; %bb.29:
	v_lshlrev_b32_e32 v3, 3, v18
	ds_read_b64 v[3:4], v3
; %bb.30:
	s_or_b64 exec, exec, s[4:5]
	s_waitcnt lgkmcnt(0)
	v_and_b32_e32 v6, s21, v4
	v_and_b32_e32 v5, s20, v3
	;; [unrolled: 1-line block ×4, first 2 shown]
	v_cmp_le_u64_e64 s[2:3], v[5:6], v[7:8]
	v_mov_b32_e32 v15, s17
	s_and_b64 s[2:3], vcc, s[2:3]
	s_or_b64 vcc, s[0:1], s[2:3]
	v_mov_b32_e32 v16, s19
	v_cndmask_b32_e32 v22, v18, v17, vcc
	v_cndmask_b32_e32 v5, v15, v16, vcc
	v_add_u32_e32 v7, 1, v22
	v_add_u32_e32 v5, -1, v5
	v_min_u32_e32 v5, v7, v5
	v_lshlrev_b32_e32 v5, 3, v5
	ds_read_b64 v[5:6], v5
	v_cndmask_b32_e32 v13, v7, v18, vcc
	v_cndmask_b32_e32 v14, v17, v7, vcc
	v_cmp_gt_u32_e64 s[4:5], s19, v14
	v_cmp_le_u32_e64 s[0:1], s17, v13
	s_waitcnt lgkmcnt(0)
	v_cndmask_b32_e32 v9, v6, v4, vcc
	v_cndmask_b32_e32 v10, v5, v3, vcc
	v_cndmask_b32_e32 v11, v2, v6, vcc
	v_cndmask_b32_e32 v12, v1, v5, vcc
	v_and_b32_e32 v6, s21, v9
	v_and_b32_e32 v5, s20, v10
	;; [unrolled: 1-line block ×4, first 2 shown]
	v_cmp_le_u64_e64 s[2:3], v[5:6], v[7:8]
	v_cndmask_b32_e32 v2, v4, v2, vcc
	s_and_b64 s[2:3], s[4:5], s[2:3]
	s_or_b64 s[0:1], s[0:1], s[2:3]
	v_cndmask_b32_e64 v23, v13, v14, s[0:1]
	v_cndmask_b32_e64 v5, v15, v16, s[0:1]
	v_add_u32_e32 v7, 1, v23
	v_add_u32_e32 v5, -1, v5
	v_min_u32_e32 v5, v7, v5
	v_lshlrev_b32_e32 v5, 3, v5
	ds_read_b64 v[5:6], v5
	v_cndmask_b32_e64 v13, v7, v13, s[0:1]
	v_cndmask_b32_e64 v14, v14, v7, s[0:1]
	v_cmp_gt_u32_e64 s[6:7], s19, v14
	v_cmp_le_u32_e64 s[2:3], s17, v13
	s_waitcnt lgkmcnt(0)
	v_cndmask_b32_e64 v17, v6, v9, s[0:1]
	v_cndmask_b32_e64 v18, v5, v10, s[0:1]
	;; [unrolled: 1-line block ×4, first 2 shown]
	v_and_b32_e32 v6, s21, v17
	v_and_b32_e32 v5, s20, v18
	;; [unrolled: 1-line block ×4, first 2 shown]
	v_cmp_le_u64_e64 s[4:5], v[5:6], v[7:8]
	v_cndmask_b32_e32 v1, v3, v1, vcc
	s_and_b64 s[4:5], s[6:7], s[4:5]
	s_or_b64 s[2:3], s[2:3], s[4:5]
	v_cndmask_b32_e64 v24, v13, v14, s[2:3]
	v_cndmask_b32_e64 v5, v15, v16, s[2:3]
	v_add_u32_e32 v7, 1, v24
	v_add_u32_e32 v5, -1, v5
	v_min_u32_e32 v5, v7, v5
	v_lshlrev_b32_e32 v5, 3, v5
	ds_read_b64 v[5:6], v5
	v_cndmask_b32_e64 v13, v7, v13, s[2:3]
	v_cndmask_b32_e64 v14, v14, v7, s[2:3]
	v_cmp_gt_u32_e64 s[8:9], s19, v14
	v_cmp_le_u32_e64 s[4:5], s17, v13
	s_waitcnt lgkmcnt(0)
	v_cndmask_b32_e64 v28, v6, v17, s[2:3]
	v_cndmask_b32_e64 v29, v5, v18, s[2:3]
	;; [unrolled: 1-line block ×4, first 2 shown]
	v_and_b32_e32 v6, s21, v28
	v_and_b32_e32 v5, s20, v29
	;; [unrolled: 1-line block ×4, first 2 shown]
	v_cmp_le_u64_e64 s[6:7], v[5:6], v[7:8]
	s_and_b64 s[6:7], s[8:9], s[6:7]
	s_or_b64 s[4:5], s[4:5], s[6:7]
	v_cndmask_b32_e64 v25, v13, v14, s[4:5]
	v_cndmask_b32_e64 v5, v15, v16, s[4:5]
	v_add_u32_e32 v7, 1, v25
	v_add_u32_e32 v5, -1, v5
	v_min_u32_e32 v5, v7, v5
	v_lshlrev_b32_e32 v5, 3, v5
	ds_read_b64 v[5:6], v5
	v_cndmask_b32_e64 v14, v14, v7, s[4:5]
	v_cndmask_b32_e64 v13, v7, v13, s[4:5]
	v_cmp_gt_u32_e64 s[8:9], s19, v14
	v_cmp_le_u32_e32 vcc, s17, v13
	s_waitcnt lgkmcnt(0)
	v_cndmask_b32_e64 v32, v6, v28, s[4:5]
	v_cndmask_b32_e64 v33, v5, v29, s[4:5]
	;; [unrolled: 1-line block ×4, first 2 shown]
	v_and_b32_e32 v4, s21, v32
	v_and_b32_e32 v3, s20, v33
	;; [unrolled: 1-line block ×4, first 2 shown]
	v_cmp_le_u64_e64 s[6:7], v[3:4], v[5:6]
	v_cndmask_b32_e64 v6, v17, v19, s[2:3]
	s_and_b64 s[6:7], s[8:9], s[6:7]
	s_or_b64 vcc, vcc, s[6:7]
	v_cndmask_b32_e32 v26, v13, v14, vcc
	v_cndmask_b32_e32 v3, v15, v16, vcc
	v_add_u32_e32 v27, 1, v26
	v_add_u32_e32 v3, -1, v3
	v_min_u32_e32 v3, v27, v3
	v_lshlrev_b32_e32 v3, 3, v3
	ds_read_b64 v[7:8], v3
	v_cndmask_b32_e64 v5, v18, v20, s[2:3]
	v_cndmask_b32_e64 v4, v9, v11, s[0:1]
	;; [unrolled: 1-line block ×3, first 2 shown]
	v_cndmask_b32_e32 v14, v14, v27, vcc
	s_waitcnt lgkmcnt(0)
	v_cndmask_b32_e32 v17, v8, v32, vcc
	v_cndmask_b32_e32 v18, v7, v33, vcc
	v_cndmask_b32_e32 v19, v34, v8, vcc
	v_cndmask_b32_e32 v20, v35, v7, vcc
	v_and_b32_e32 v8, s21, v17
	v_and_b32_e32 v7, s20, v18
	;; [unrolled: 1-line block ×4, first 2 shown]
	v_cmp_le_u64_e64 s[2:3], v[7:8], v[9:10]
	v_cndmask_b32_e32 v13, v27, v13, vcc
	v_cmp_gt_u32_e64 s[6:7], s19, v14
	v_cmp_le_u32_e64 s[0:1], s17, v13
	s_and_b64 s[2:3], s[6:7], s[2:3]
	s_or_b64 s[0:1], s[0:1], s[2:3]
	v_cndmask_b32_e64 v27, v13, v14, s[0:1]
	v_cndmask_b32_e64 v7, v15, v16, s[0:1]
	v_add_u32_e32 v36, 1, v27
	v_add_u32_e32 v7, -1, v7
	v_min_u32_e32 v7, v36, v7
	v_lshlrev_b32_e32 v7, 3, v7
	ds_read_b64 v[11:12], v7
	v_cndmask_b32_e64 v8, v28, v30, s[4:5]
	v_cndmask_b32_e64 v7, v29, v31, s[4:5]
	v_cndmask_b32_e32 v10, v32, v34, vcc
	v_cndmask_b32_e32 v9, v33, v35, vcc
	s_waitcnt lgkmcnt(0)
	v_cndmask_b32_e64 v28, v12, v17, s[0:1]
	v_cndmask_b32_e64 v30, v11, v18, s[0:1]
	;; [unrolled: 1-line block ×6, first 2 shown]
	v_and_b32_e32 v12, s21, v28
	v_and_b32_e32 v11, s20, v30
	;; [unrolled: 1-line block ×4, first 2 shown]
	v_cmp_le_u64_e64 s[2:3], v[11:12], v[13:14]
	v_cmp_gt_u32_e64 s[4:5], s19, v34
	v_cmp_le_u32_e32 vcc, s17, v33
	s_and_b64 s[2:3], s[4:5], s[2:3]
	s_or_b64 vcc, vcc, s[2:3]
	v_cndmask_b32_e32 v29, v33, v34, vcc
	v_cndmask_b32_e32 v11, v15, v16, vcc
	v_add_u32_e32 v35, 1, v29
	v_add_u32_e32 v11, -1, v11
	v_min_u32_e32 v11, v35, v11
	v_lshlrev_b32_e32 v11, 3, v11
	ds_read_b64 v[15:16], v11
	v_cndmask_b32_e64 v12, v17, v19, s[0:1]
	v_cndmask_b32_e64 v11, v18, v20, s[0:1]
	v_cndmask_b32_e32 v14, v28, v31, vcc
	v_cndmask_b32_e32 v13, v30, v32, vcc
	s_waitcnt lgkmcnt(0)
	v_cndmask_b32_e32 v19, v16, v28, vcc
	v_cndmask_b32_e32 v20, v15, v30, vcc
	;; [unrolled: 1-line block ×4, first 2 shown]
	v_and_b32_e32 v16, s21, v19
	v_and_b32_e32 v15, s20, v20
	;; [unrolled: 1-line block ×4, first 2 shown]
	v_cndmask_b32_e32 v32, v34, v35, vcc
	v_cmp_le_u64_e64 s[0:1], v[15:16], v[17:18]
	v_cndmask_b32_e32 v28, v35, v33, vcc
	v_cmp_gt_u32_e64 s[2:3], s19, v32
	v_cmp_le_u32_e32 vcc, s17, v28
	s_and_b64 s[0:1], s[2:3], s[0:1]
	s_or_b64 vcc, vcc, s[0:1]
	v_cndmask_b32_e32 v28, v28, v32, vcc
	v_cndmask_b32_e32 v16, v19, v30, vcc
	;; [unrolled: 1-line block ×3, first 2 shown]
.LBB8_31:
	s_or_b64 exec, exec, s[34:35]
	s_add_u32 s8, s12, s28
	s_addc_u32 s9, s13, s29
	s_add_u32 s6, s12, s30
	v_cndmask_b32_e64 v17, 0, 1, s[24:25]
	s_addc_u32 s7, s13, s31
	v_cmp_gt_u32_e64 s[4:5], s19, v0
	v_cmp_ne_u32_e64 s[0:1], 1, v17
	s_andn2_b64 vcc, exec, s[24:25]
	v_cmp_le_u32_e64 s[2:3], s19, v0
	s_barrier
	s_cbranch_vccnz .LBB8_33
; %bb.32:
	v_subrev_u32_e32 v17, s19, v0
	v_lshlrev_b32_e32 v17, 3, v17
	v_mov_b32_e32 v18, s7
	v_add_co_u32_e32 v17, vcc, s6, v17
	v_addc_co_u32_e32 v18, vcc, 0, v18, vcc
	v_mov_b32_e32 v19, s9
	v_add_co_u32_e32 v20, vcc, s8, v21
	v_addc_co_u32_e32 v19, vcc, 0, v19, vcc
	v_cndmask_b32_e64 v18, v18, v19, s[4:5]
	v_or_b32_e32 v19, 0x80, v0
	v_cndmask_b32_e64 v17, v17, v20, s[4:5]
	v_subrev_u32_e32 v20, s19, v19
	v_min_u32_e32 v20, v19, v20
	v_cmp_gt_u32_e32 vcc, s19, v19
	v_mov_b32_e32 v42, s6
	v_mov_b32_e32 v43, s8
	;; [unrolled: 1-line block ×4, first 2 shown]
	v_cndmask_b32_e32 v19, v42, v43, vcc
	v_lshlrev_b32_e32 v20, 3, v20
	v_cndmask_b32_e32 v30, v40, v41, vcc
	v_add_co_u32_e32 v19, vcc, v19, v20
	v_addc_co_u32_e32 v20, vcc, 0, v30, vcc
	v_or_b32_e32 v30, 0x100, v0
	v_subrev_u32_e32 v31, s19, v30
	v_min_u32_e32 v31, v30, v31
	v_cmp_gt_u32_e32 vcc, s19, v30
	v_cndmask_b32_e32 v30, v42, v43, vcc
	v_lshlrev_b32_e32 v31, 3, v31
	v_cndmask_b32_e32 v32, v40, v41, vcc
	v_add_co_u32_e32 v30, vcc, v30, v31
	v_addc_co_u32_e32 v31, vcc, 0, v32, vcc
	v_or_b32_e32 v32, 0x180, v0
	v_subrev_u32_e32 v33, s19, v32
	v_min_u32_e32 v33, v32, v33
	v_cmp_gt_u32_e32 vcc, s19, v32
	;; [unrolled: 9-line block ×5, first 2 shown]
	global_load_dwordx2 v[17:18], v[17:18], off
	v_cndmask_b32_e32 v38, v42, v43, vcc
	global_load_dwordx2 v[19:20], v[19:20], off
	v_lshlrev_b32_e32 v39, 3, v39
	global_load_dwordx2 v[30:31], v[30:31], off
	v_cndmask_b32_e32 v44, v40, v41, vcc
	global_load_dwordx2 v[32:33], v[32:33], off
	v_add_co_u32_e32 v38, vcc, v38, v39
	global_load_dwordx2 v[34:35], v[34:35], off
	v_addc_co_u32_e32 v39, vcc, 0, v44, vcc
	global_load_dwordx2 v[36:37], v[36:37], off
	s_nop 0
	global_load_dwordx2 v[38:39], v[38:39], off
	s_mov_b64 s[4:5], -1
	s_waitcnt vmcnt(5)
	ds_write2st64_b64 v21, v[17:18], v[19:20] offset1:2
	s_waitcnt vmcnt(3)
	ds_write2st64_b64 v21, v[30:31], v[32:33] offset0:4 offset1:6
	s_waitcnt vmcnt(1)
	ds_write2st64_b64 v21, v[34:35], v[36:37] offset0:8 offset1:10
	s_waitcnt vmcnt(0)
	ds_write_b64 v21, v[38:39] offset:6144
	v_or_b32_e32 v30, 0x380, v0
	v_subrev_u32_e32 v17, s19, v30
	v_cmp_gt_u32_e32 vcc, s19, v30
	v_min_u32_e32 v19, v30, v17
	v_cndmask_b32_e32 v18, v40, v41, vcc
	v_cndmask_b32_e32 v17, v42, v43, vcc
	s_cbranch_execz .LBB8_34
	s_branch .LBB8_65
.LBB8_33:
	s_mov_b64 s[4:5], 0
                                        ; implicit-def: $vgpr30
                                        ; implicit-def: $vgpr17_vgpr18
                                        ; implicit-def: $vgpr19
.LBB8_34:
	s_mov_b64 s[4:5], 0
                                        ; implicit-def: $vgpr17_vgpr18
	s_and_saveexec_b64 s[20:21], s[2:3]
	s_xor_b64 s[2:3], exec, s[20:21]
	s_cbranch_execnz .LBB8_104
; %bb.35:
	s_andn2_saveexec_b64 s[2:3], s[2:3]
	s_cbranch_execnz .LBB8_107
.LBB8_36:
	s_or_b64 exec, exec, s[2:3]
	s_and_saveexec_b64 s[2:3], s[4:5]
	s_cbranch_execz .LBB8_38
.LBB8_37:
	global_load_dwordx2 v[17:18], v[17:18], off
	s_waitcnt vmcnt(0)
	ds_write_b64 v21, v[17:18]
.LBB8_38:
	s_or_b64 exec, exec, s[2:3]
	v_or_b32_e32 v19, 0x80, v0
	v_mov_b32_e32 v17, s22
	v_cmp_le_u32_e32 vcc, s19, v19
	s_mov_b64 s[2:3], -1
	v_mov_b32_e32 v18, s23
	s_and_saveexec_b64 s[4:5], vcc
; %bb.39:
	v_subrev_u32_e32 v19, s19, v19
	v_cmp_gt_u32_e32 vcc, s33, v19
	v_mov_b32_e32 v17, s26
	v_mov_b32_e32 v18, s27
	s_orn2_b64 s[2:3], vcc, exec
; %bb.40:
	s_or_b64 exec, exec, s[4:5]
	s_and_saveexec_b64 s[4:5], s[2:3]
	s_cbranch_execz .LBB8_42
; %bb.41:
	v_lshlrev_b64 v[17:18], 3, v[17:18]
	v_mov_b32_e32 v20, s13
	v_add_co_u32_e32 v17, vcc, s12, v17
	v_addc_co_u32_e32 v18, vcc, v20, v18, vcc
	v_lshlrev_b32_e32 v19, 3, v19
	v_add_co_u32_e32 v17, vcc, v17, v19
	v_addc_co_u32_e32 v18, vcc, 0, v18, vcc
	global_load_dwordx2 v[17:18], v[17:18], off
	s_waitcnt vmcnt(0)
	ds_write_b64 v21, v[17:18] offset:1024
.LBB8_42:
	s_or_b64 exec, exec, s[4:5]
	v_or_b32_e32 v19, 0x100, v0
	v_mov_b32_e32 v17, s22
	v_cmp_le_u32_e32 vcc, s19, v19
	s_mov_b64 s[2:3], -1
	v_mov_b32_e32 v18, s23
	s_and_saveexec_b64 s[4:5], vcc
; %bb.43:
	v_subrev_u32_e32 v19, s19, v19
	v_cmp_gt_u32_e32 vcc, s33, v19
	v_mov_b32_e32 v17, s26
	v_mov_b32_e32 v18, s27
	s_orn2_b64 s[2:3], vcc, exec
; %bb.44:
	s_or_b64 exec, exec, s[4:5]
	s_and_saveexec_b64 s[4:5], s[2:3]
	s_cbranch_execz .LBB8_46
; %bb.45:
	v_lshlrev_b64 v[17:18], 3, v[17:18]
	v_mov_b32_e32 v20, s13
	v_add_co_u32_e32 v17, vcc, s12, v17
	v_addc_co_u32_e32 v18, vcc, v20, v18, vcc
	v_lshlrev_b32_e32 v19, 3, v19
	v_add_co_u32_e32 v17, vcc, v17, v19
	v_addc_co_u32_e32 v18, vcc, 0, v18, vcc
	global_load_dwordx2 v[17:18], v[17:18], off
	s_waitcnt vmcnt(0)
	ds_write_b64 v21, v[17:18] offset:2048
.LBB8_46:
	s_or_b64 exec, exec, s[4:5]
	v_or_b32_e32 v19, 0x180, v0
	v_mov_b32_e32 v17, s22
	v_cmp_le_u32_e32 vcc, s19, v19
	s_mov_b64 s[2:3], -1
	v_mov_b32_e32 v18, s23
	s_and_saveexec_b64 s[4:5], vcc
; %bb.47:
	v_subrev_u32_e32 v19, s19, v19
	v_cmp_gt_u32_e32 vcc, s33, v19
	v_mov_b32_e32 v17, s26
	v_mov_b32_e32 v18, s27
	s_orn2_b64 s[2:3], vcc, exec
; %bb.48:
	s_or_b64 exec, exec, s[4:5]
	s_and_saveexec_b64 s[4:5], s[2:3]
	s_cbranch_execz .LBB8_50
; %bb.49:
	v_lshlrev_b64 v[17:18], 3, v[17:18]
	v_mov_b32_e32 v20, s13
	v_add_co_u32_e32 v17, vcc, s12, v17
	v_addc_co_u32_e32 v18, vcc, v20, v18, vcc
	v_lshlrev_b32_e32 v19, 3, v19
	v_add_co_u32_e32 v17, vcc, v17, v19
	v_addc_co_u32_e32 v18, vcc, 0, v18, vcc
	global_load_dwordx2 v[17:18], v[17:18], off
	s_waitcnt vmcnt(0)
	ds_write_b64 v21, v[17:18] offset:3072
.LBB8_50:
	s_or_b64 exec, exec, s[4:5]
	v_or_b32_e32 v19, 0x200, v0
	v_mov_b32_e32 v17, s22
	v_cmp_le_u32_e32 vcc, s19, v19
	s_mov_b64 s[2:3], -1
	v_mov_b32_e32 v18, s23
	s_and_saveexec_b64 s[4:5], vcc
; %bb.51:
	v_subrev_u32_e32 v19, s19, v19
	v_cmp_gt_u32_e32 vcc, s33, v19
	v_mov_b32_e32 v17, s26
	v_mov_b32_e32 v18, s27
	s_orn2_b64 s[2:3], vcc, exec
; %bb.52:
	s_or_b64 exec, exec, s[4:5]
	s_and_saveexec_b64 s[4:5], s[2:3]
	s_cbranch_execz .LBB8_54
; %bb.53:
	v_lshlrev_b64 v[17:18], 3, v[17:18]
	v_mov_b32_e32 v20, s13
	v_add_co_u32_e32 v17, vcc, s12, v17
	v_addc_co_u32_e32 v18, vcc, v20, v18, vcc
	v_lshlrev_b32_e32 v19, 3, v19
	v_add_co_u32_e32 v17, vcc, v17, v19
	v_addc_co_u32_e32 v18, vcc, 0, v18, vcc
	global_load_dwordx2 v[17:18], v[17:18], off
	s_waitcnt vmcnt(0)
	ds_write_b64 v21, v[17:18] offset:4096
.LBB8_54:
	s_or_b64 exec, exec, s[4:5]
	v_or_b32_e32 v19, 0x280, v0
	v_mov_b32_e32 v17, s22
	v_cmp_le_u32_e32 vcc, s19, v19
	s_mov_b64 s[2:3], -1
	v_mov_b32_e32 v18, s23
	s_and_saveexec_b64 s[4:5], vcc
; %bb.55:
	v_subrev_u32_e32 v19, s19, v19
	v_cmp_gt_u32_e32 vcc, s33, v19
	v_mov_b32_e32 v17, s26
	v_mov_b32_e32 v18, s27
	s_orn2_b64 s[2:3], vcc, exec
; %bb.56:
	s_or_b64 exec, exec, s[4:5]
	s_and_saveexec_b64 s[4:5], s[2:3]
	s_cbranch_execz .LBB8_58
; %bb.57:
	v_lshlrev_b64 v[17:18], 3, v[17:18]
	v_mov_b32_e32 v20, s13
	v_add_co_u32_e32 v17, vcc, s12, v17
	v_addc_co_u32_e32 v18, vcc, v20, v18, vcc
	v_lshlrev_b32_e32 v19, 3, v19
	v_add_co_u32_e32 v17, vcc, v17, v19
	v_addc_co_u32_e32 v18, vcc, 0, v18, vcc
	global_load_dwordx2 v[17:18], v[17:18], off
	s_waitcnt vmcnt(0)
	ds_write_b64 v21, v[17:18] offset:5120
.LBB8_58:
	s_or_b64 exec, exec, s[4:5]
	v_or_b32_e32 v19, 0x300, v0
	v_mov_b32_e32 v17, s22
	v_cmp_le_u32_e32 vcc, s19, v19
	s_mov_b64 s[2:3], -1
	v_mov_b32_e32 v18, s23
	s_and_saveexec_b64 s[4:5], vcc
; %bb.59:
	v_subrev_u32_e32 v19, s19, v19
	v_cmp_gt_u32_e32 vcc, s33, v19
	v_mov_b32_e32 v17, s26
	v_mov_b32_e32 v18, s27
	s_orn2_b64 s[2:3], vcc, exec
; %bb.60:
	s_or_b64 exec, exec, s[4:5]
	s_and_saveexec_b64 s[4:5], s[2:3]
	s_cbranch_execz .LBB8_62
; %bb.61:
	v_lshlrev_b64 v[17:18], 3, v[17:18]
	v_mov_b32_e32 v20, s13
	v_add_co_u32_e32 v17, vcc, s12, v17
	v_addc_co_u32_e32 v18, vcc, v20, v18, vcc
	v_lshlrev_b32_e32 v19, 3, v19
	v_add_co_u32_e32 v17, vcc, v17, v19
	v_addc_co_u32_e32 v18, vcc, 0, v18, vcc
	global_load_dwordx2 v[17:18], v[17:18], off
	s_waitcnt vmcnt(0)
	ds_write_b64 v21, v[17:18] offset:6144
.LBB8_62:
	s_or_b64 exec, exec, s[4:5]
	v_or_b32_e32 v30, 0x380, v0
	v_mov_b32_e32 v18, s9
	v_cmp_le_u32_e32 vcc, s19, v30
	s_mov_b64 s[4:5], -1
	v_mov_b32_e32 v17, s8
	v_mov_b32_e32 v19, v30
	s_and_saveexec_b64 s[2:3], vcc
; %bb.63:
	v_subrev_u32_e32 v19, s19, v30
	v_cmp_gt_u32_e32 vcc, s33, v19
	v_mov_b32_e32 v18, s7
	v_mov_b32_e32 v17, s6
	s_orn2_b64 s[4:5], vcc, exec
; %bb.64:
	s_or_b64 exec, exec, s[2:3]
.LBB8_65:
	s_and_saveexec_b64 s[2:3], s[4:5]
	s_cbranch_execz .LBB8_67
; %bb.66:
	v_mov_b32_e32 v20, 0
	v_lshlrev_b64 v[19:20], 3, v[19:20]
	v_add_co_u32_e32 v17, vcc, v17, v19
	v_addc_co_u32_e32 v18, vcc, v18, v20, vcc
	global_load_dwordx2 v[17:18], v[17:18], off
	v_lshlrev_b32_e32 v19, 3, v30
	s_waitcnt vmcnt(0)
	ds_write_b64 v19, v[17:18]
.LBB8_67:
	s_or_b64 exec, exec, s[2:3]
	s_and_b64 vcc, exec, s[0:1]
	v_add_u32_e32 v17, s18, v21
	s_waitcnt lgkmcnt(0)
	s_barrier
	s_cbranch_vccnz .LBB8_69
; %bb.68:
	v_lshlrev_b32_e32 v30, 3, v22
	v_lshlrev_b32_e32 v32, 3, v23
	;; [unrolled: 1-line block ×7, first 2 shown]
	v_mov_b32_e32 v18, 0
	ds_read_b64 v[30:31], v30
	ds_read_b64 v[32:33], v32
	;; [unrolled: 1-line block ×7, first 2 shown]
	v_lshlrev_b64 v[19:20], 3, v[17:18]
	v_mov_b32_e32 v44, s15
	v_add_co_u32_e32 v19, vcc, s14, v19
	v_addc_co_u32_e32 v20, vcc, v44, v20, vcc
	s_mov_b64 s[0:1], -1
	s_waitcnt lgkmcnt(5)
	global_store_dwordx4 v[19:20], v[30:33], off
	s_waitcnt lgkmcnt(3)
	global_store_dwordx4 v[19:20], v[34:37], off offset:16
	s_waitcnt lgkmcnt(1)
	global_store_dwordx4 v[19:20], v[38:41], off offset:32
	s_waitcnt lgkmcnt(0)
	global_store_dwordx2 v[19:20], v[42:43], off offset:48
	s_cbranch_execz .LBB8_70
	s_branch .LBB8_87
.LBB8_69:
	s_mov_b64 s[0:1], 0
.LBB8_70:
	v_cmp_gt_u32_e32 vcc, s17, v21
	s_and_saveexec_b64 s[2:3], vcc
	s_cbranch_execz .LBB8_72
; %bb.71:
	v_lshlrev_b32_e32 v22, 3, v22
	v_mov_b32_e32 v18, 0
	ds_read_b64 v[30:31], v22
	v_lshlrev_b64 v[18:19], 3, v[17:18]
	v_mov_b32_e32 v20, s15
	v_add_co_u32_e32 v18, vcc, s14, v18
	v_addc_co_u32_e32 v19, vcc, v20, v19, vcc
	s_waitcnt lgkmcnt(0)
	global_store_dwordx2 v[18:19], v[30:31], off
.LBB8_72:
	s_or_b64 exec, exec, s[2:3]
	v_or_b32_e32 v18, 1, v21
	v_cmp_gt_u32_e32 vcc, s17, v18
	s_and_saveexec_b64 s[2:3], vcc
	s_cbranch_execz .LBB8_74
; %bb.73:
	v_lshlrev_b32_e32 v22, 3, v23
	v_mov_b32_e32 v18, 0
	ds_read_b64 v[22:23], v22
	v_lshlrev_b64 v[18:19], 3, v[17:18]
	v_mov_b32_e32 v20, s15
	v_add_co_u32_e32 v18, vcc, s14, v18
	v_addc_co_u32_e32 v19, vcc, v20, v19, vcc
	s_waitcnt lgkmcnt(0)
	global_store_dwordx2 v[18:19], v[22:23], off offset:8
.LBB8_74:
	s_or_b64 exec, exec, s[2:3]
	v_or_b32_e32 v18, 2, v21
	v_cmp_gt_u32_e32 vcc, s17, v18
	s_and_saveexec_b64 s[2:3], vcc
	s_cbranch_execz .LBB8_76
; %bb.75:
	v_lshlrev_b32_e32 v22, 3, v24
	v_mov_b32_e32 v18, 0
	ds_read_b64 v[22:23], v22
	v_lshlrev_b64 v[18:19], 3, v[17:18]
	v_mov_b32_e32 v20, s15
	v_add_co_u32_e32 v18, vcc, s14, v18
	v_addc_co_u32_e32 v19, vcc, v20, v19, vcc
	s_waitcnt lgkmcnt(0)
	global_store_dwordx2 v[18:19], v[22:23], off offset:16
.LBB8_76:
	;; [unrolled: 16-line block ×6, first 2 shown]
	s_or_b64 exec, exec, s[2:3]
	v_or_b32_e32 v18, 7, v21
	v_cmp_gt_u32_e32 vcc, s17, v18
	s_and_saveexec_b64 s[2:3], vcc
; %bb.85:
	v_mov_b32_e32 v18, 0
	s_or_b64 s[0:1], s[0:1], exec
; %bb.86:
	s_or_b64 exec, exec, s[2:3]
.LBB8_87:
	s_and_saveexec_b64 s[2:3], s[0:1]
	s_cbranch_execz .LBB8_89
; %bb.88:
	v_lshlrev_b32_e32 v19, 3, v28
	ds_read_b64 v[19:20], v19
	v_lshlrev_b64 v[17:18], 3, v[17:18]
	v_mov_b32_e32 v22, s15
	v_add_co_u32_e32 v17, vcc, s14, v17
	v_addc_co_u32_e32 v18, vcc, v22, v18, vcc
	s_waitcnt lgkmcnt(0)
	global_store_dwordx2 v[17:18], v[19:20], off offset:56
.LBB8_89:
	s_or_b64 exec, exec, s[2:3]
	v_lshrrev_b32_e32 v17, 2, v0
	v_lshlrev_b32_e32 v18, 3, v21
	v_lshl_add_u32 v18, v17, 3, v18
	s_waitcnt vmcnt(0)
	s_barrier
	s_barrier
	ds_write2_b64 v18, v[1:2], v[3:4] offset1:1
	ds_write2_b64 v18, v[5:6], v[7:8] offset0:2 offset1:3
	ds_write2_b64 v18, v[9:10], v[11:12] offset0:4 offset1:5
	;; [unrolled: 1-line block ×3, first 2 shown]
	v_and_b32_e32 v1, 24, v17
	v_or_b32_e32 v24, 0x80, v0
	v_add_u32_e32 v25, v1, v21
	v_lshrrev_b32_e32 v1, 2, v24
	v_and_b32_e32 v1, 56, v1
	v_or_b32_e32 v23, 0x100, v0
	v_add_u32_e32 v5, v1, v21
	v_lshrrev_b32_e32 v1, 2, v23
	;; [unrolled: 4-line block ×5, first 2 shown]
	v_and_b32_e32 v1, 0xb8, v1
	v_or_b32_e32 v18, 0x300, v0
	s_mov_b32 s19, 0
	v_add_u32_e32 v26, v1, v21
	v_lshrrev_b32_e32 v1, 2, v18
	s_lshl_b64 s[0:1], s[18:19], 3
	v_and_b32_e32 v1, 0xd8, v1
	v_or_b32_e32 v17, 0x380, v0
	s_add_u32 s0, s10, s0
	v_add_u32_e32 v27, v1, v21
	v_lshrrev_b32_e32 v1, 2, v17
	s_addc_u32 s1, s11, s1
	v_and_b32_e32 v1, 0xf8, v1
	v_add_u32_e32 v28, v1, v21
	v_mov_b32_e32 v2, s1
	v_add_co_u32_e32 v1, vcc, s0, v21
	v_addc_co_u32_e32 v2, vcc, 0, v2, vcc
	s_and_b64 vcc, exec, s[24:25]
	s_waitcnt lgkmcnt(0)
	s_cbranch_vccz .LBB8_91
; %bb.90:
	s_barrier
	ds_read_b64 v[9:10], v25
	ds_read_b64 v[11:12], v5 offset:1024
	ds_read_b64 v[13:14], v6 offset:2048
	;; [unrolled: 1-line block ×7, first 2 shown]
	s_waitcnt lgkmcnt(7)
	global_store_dwordx2 v[1:2], v[9:10], off
	s_waitcnt lgkmcnt(6)
	global_store_dwordx2 v[1:2], v[11:12], off offset:1024
	s_waitcnt lgkmcnt(5)
	global_store_dwordx2 v[1:2], v[13:14], off offset:2048
	;; [unrolled: 2-line block ×3, first 2 shown]
	v_add_co_u32_e32 v9, vcc, 0x1000, v1
	v_addc_co_u32_e32 v10, vcc, 0, v2, vcc
	s_waitcnt lgkmcnt(3)
	global_store_dwordx2 v[9:10], v[29:30], off
	s_waitcnt lgkmcnt(2)
	global_store_dwordx2 v[9:10], v[31:32], off offset:1024
	s_waitcnt lgkmcnt(1)
	global_store_dwordx2 v[9:10], v[33:34], off offset:2048
	s_mov_b64 s[0:1], -1
	s_cbranch_execz .LBB8_92
	s_branch .LBB8_101
.LBB8_91:
	s_mov_b64 s[0:1], 0
                                        ; implicit-def: $vgpr3_vgpr4
.LBB8_92:
	s_waitcnt vmcnt(0) lgkmcnt(0)
	s_barrier
	ds_read_b64 v[15:16], v5 offset:1024
	ds_read_b64 v[13:14], v6 offset:2048
	;; [unrolled: 1-line block ×7, first 2 shown]
	s_sub_i32 s2, s16, s18
	v_cmp_gt_u32_e32 vcc, s2, v0
	s_and_saveexec_b64 s[0:1], vcc
	s_cbranch_execnz .LBB8_108
; %bb.93:
	s_or_b64 exec, exec, s[0:1]
	v_cmp_gt_u32_e32 vcc, s2, v24
	s_and_saveexec_b64 s[0:1], vcc
	s_cbranch_execnz .LBB8_109
.LBB8_94:
	s_or_b64 exec, exec, s[0:1]
	v_cmp_gt_u32_e32 vcc, s2, v23
	s_and_saveexec_b64 s[0:1], vcc
	s_cbranch_execnz .LBB8_110
.LBB8_95:
	s_or_b64 exec, exec, s[0:1]
	v_cmp_gt_u32_e32 vcc, s2, v22
	s_and_saveexec_b64 s[0:1], vcc
	s_cbranch_execnz .LBB8_111
.LBB8_96:
	s_or_b64 exec, exec, s[0:1]
	v_cmp_gt_u32_e32 vcc, s2, v20
	s_and_saveexec_b64 s[0:1], vcc
	s_cbranch_execnz .LBB8_112
.LBB8_97:
	s_or_b64 exec, exec, s[0:1]
	v_cmp_gt_u32_e32 vcc, s2, v19
	s_and_saveexec_b64 s[0:1], vcc
	s_cbranch_execnz .LBB8_113
.LBB8_98:
	s_or_b64 exec, exec, s[0:1]
	v_cmp_gt_u32_e32 vcc, s2, v18
	s_and_saveexec_b64 s[0:1], vcc
	s_cbranch_execz .LBB8_100
.LBB8_99:
	s_waitcnt lgkmcnt(2)
	v_add_co_u32_e32 v7, vcc, 0x1000, v1
	v_addc_co_u32_e32 v8, vcc, 0, v2, vcc
	s_waitcnt lgkmcnt(1)
	global_store_dwordx2 v[7:8], v[5:6], off offset:2048
.LBB8_100:
	s_or_b64 exec, exec, s[0:1]
	v_cmp_gt_u32_e64 s[0:1], s2, v17
.LBB8_101:
	s_and_saveexec_b64 s[2:3], s[0:1]
	s_cbranch_execz .LBB8_103
; %bb.102:
	v_add_co_u32_e32 v0, vcc, 0x1000, v1
	v_addc_co_u32_e32 v1, vcc, 0, v2, vcc
	s_waitcnt lgkmcnt(0)
	global_store_dwordx2 v[0:1], v[3:4], off offset:3072
.LBB8_103:
	s_endpgm
.LBB8_104:
	v_subrev_u32_e32 v19, s19, v0
	v_cmp_gt_u32_e32 vcc, s33, v19
                                        ; implicit-def: $vgpr17_vgpr18
	s_and_saveexec_b64 s[20:21], vcc
	s_xor_b64 s[20:21], exec, s[20:21]
; %bb.105:
	v_lshlrev_b32_e32 v17, 3, v19
	v_mov_b32_e32 v18, s7
	v_add_co_u32_e32 v17, vcc, s6, v17
	s_mov_b64 s[4:5], exec
	v_addc_co_u32_e32 v18, vcc, 0, v18, vcc
; %bb.106:
	s_or_b64 exec, exec, s[20:21]
	s_and_b64 s[4:5], s[4:5], exec
	s_andn2_saveexec_b64 s[2:3], s[2:3]
	s_cbranch_execz .LBB8_36
.LBB8_107:
	v_mov_b32_e32 v18, s9
	v_add_co_u32_e32 v17, vcc, s8, v21
	v_addc_co_u32_e32 v18, vcc, 0, v18, vcc
	s_or_b64 s[4:5], s[4:5], exec
	s_or_b64 exec, exec, s[2:3]
	s_and_saveexec_b64 s[2:3], s[4:5]
	s_cbranch_execnz .LBB8_37
	s_branch .LBB8_38
.LBB8_108:
	ds_read_b64 v[25:26], v25
	s_waitcnt lgkmcnt(0)
	global_store_dwordx2 v[1:2], v[25:26], off
	s_or_b64 exec, exec, s[0:1]
	v_cmp_gt_u32_e32 vcc, s2, v24
	s_and_saveexec_b64 s[0:1], vcc
	s_cbranch_execz .LBB8_94
.LBB8_109:
	s_waitcnt lgkmcnt(6)
	global_store_dwordx2 v[1:2], v[15:16], off offset:1024
	s_or_b64 exec, exec, s[0:1]
	v_cmp_gt_u32_e32 vcc, s2, v23
	s_and_saveexec_b64 s[0:1], vcc
	s_cbranch_execz .LBB8_95
.LBB8_110:
	s_waitcnt lgkmcnt(5)
	global_store_dwordx2 v[1:2], v[13:14], off offset:2048
	s_or_b64 exec, exec, s[0:1]
	v_cmp_gt_u32_e32 vcc, s2, v22
	s_and_saveexec_b64 s[0:1], vcc
	s_cbranch_execz .LBB8_96
.LBB8_111:
	s_waitcnt lgkmcnt(4)
	global_store_dwordx2 v[1:2], v[11:12], off offset:3072
	s_or_b64 exec, exec, s[0:1]
	v_cmp_gt_u32_e32 vcc, s2, v20
	s_and_saveexec_b64 s[0:1], vcc
	s_cbranch_execz .LBB8_97
.LBB8_112:
	s_waitcnt lgkmcnt(4)
	v_add_co_u32_e32 v11, vcc, 0x1000, v1
	v_addc_co_u32_e32 v12, vcc, 0, v2, vcc
	s_waitcnt lgkmcnt(3)
	global_store_dwordx2 v[11:12], v[9:10], off
	s_or_b64 exec, exec, s[0:1]
	v_cmp_gt_u32_e32 vcc, s2, v19
	s_and_saveexec_b64 s[0:1], vcc
	s_cbranch_execz .LBB8_98
.LBB8_113:
	s_waitcnt lgkmcnt(3)
	v_add_co_u32_e32 v9, vcc, 0x1000, v1
	v_addc_co_u32_e32 v10, vcc, 0, v2, vcc
	s_waitcnt lgkmcnt(2)
	global_store_dwordx2 v[9:10], v[7:8], off offset:1024
	s_or_b64 exec, exec, s[0:1]
	v_cmp_gt_u32_e32 vcc, s2, v18
	s_and_saveexec_b64 s[0:1], vcc
	s_cbranch_execnz .LBB8_99
	s_branch .LBB8_100
	.section	.rodata,"a",@progbits
	.p2align	6, 0x0
	.amdhsa_kernel _ZN7rocprim17ROCPRIM_304000_NS6detail35device_block_merge_mergepath_kernelINS1_37wrapped_merge_sort_block_merge_configINS0_14default_configEmN2at4cuda3cub6detail10OpaqueTypeILi8EEEEEPmSC_PSA_SD_jNS1_19radix_merge_compareILb1ELb1EmNS0_19identity_decomposerEEEEEvT0_T1_T2_T3_T4_SL_jT5_PKSL_NS1_7vsmem_tE
		.amdhsa_group_segment_fixed_size 8448
		.amdhsa_private_segment_fixed_size 0
		.amdhsa_kernarg_size 328
		.amdhsa_user_sgpr_count 6
		.amdhsa_user_sgpr_private_segment_buffer 1
		.amdhsa_user_sgpr_dispatch_ptr 0
		.amdhsa_user_sgpr_queue_ptr 0
		.amdhsa_user_sgpr_kernarg_segment_ptr 1
		.amdhsa_user_sgpr_dispatch_id 0
		.amdhsa_user_sgpr_flat_scratch_init 0
		.amdhsa_user_sgpr_private_segment_size 0
		.amdhsa_uses_dynamic_stack 0
		.amdhsa_system_sgpr_private_segment_wavefront_offset 0
		.amdhsa_system_sgpr_workgroup_id_x 1
		.amdhsa_system_sgpr_workgroup_id_y 1
		.amdhsa_system_sgpr_workgroup_id_z 1
		.amdhsa_system_sgpr_workgroup_info 0
		.amdhsa_system_vgpr_workitem_id 0
		.amdhsa_next_free_vgpr 49
		.amdhsa_next_free_sgpr 98
		.amdhsa_reserve_vcc 1
		.amdhsa_reserve_flat_scratch 0
		.amdhsa_float_round_mode_32 0
		.amdhsa_float_round_mode_16_64 0
		.amdhsa_float_denorm_mode_32 3
		.amdhsa_float_denorm_mode_16_64 3
		.amdhsa_dx10_clamp 1
		.amdhsa_ieee_mode 1
		.amdhsa_fp16_overflow 0
		.amdhsa_exception_fp_ieee_invalid_op 0
		.amdhsa_exception_fp_denorm_src 0
		.amdhsa_exception_fp_ieee_div_zero 0
		.amdhsa_exception_fp_ieee_overflow 0
		.amdhsa_exception_fp_ieee_underflow 0
		.amdhsa_exception_fp_ieee_inexact 0
		.amdhsa_exception_int_div_zero 0
	.end_amdhsa_kernel
	.section	.text._ZN7rocprim17ROCPRIM_304000_NS6detail35device_block_merge_mergepath_kernelINS1_37wrapped_merge_sort_block_merge_configINS0_14default_configEmN2at4cuda3cub6detail10OpaqueTypeILi8EEEEEPmSC_PSA_SD_jNS1_19radix_merge_compareILb1ELb1EmNS0_19identity_decomposerEEEEEvT0_T1_T2_T3_T4_SL_jT5_PKSL_NS1_7vsmem_tE,"axG",@progbits,_ZN7rocprim17ROCPRIM_304000_NS6detail35device_block_merge_mergepath_kernelINS1_37wrapped_merge_sort_block_merge_configINS0_14default_configEmN2at4cuda3cub6detail10OpaqueTypeILi8EEEEEPmSC_PSA_SD_jNS1_19radix_merge_compareILb1ELb1EmNS0_19identity_decomposerEEEEEvT0_T1_T2_T3_T4_SL_jT5_PKSL_NS1_7vsmem_tE,comdat
.Lfunc_end8:
	.size	_ZN7rocprim17ROCPRIM_304000_NS6detail35device_block_merge_mergepath_kernelINS1_37wrapped_merge_sort_block_merge_configINS0_14default_configEmN2at4cuda3cub6detail10OpaqueTypeILi8EEEEEPmSC_PSA_SD_jNS1_19radix_merge_compareILb1ELb1EmNS0_19identity_decomposerEEEEEvT0_T1_T2_T3_T4_SL_jT5_PKSL_NS1_7vsmem_tE, .Lfunc_end8-_ZN7rocprim17ROCPRIM_304000_NS6detail35device_block_merge_mergepath_kernelINS1_37wrapped_merge_sort_block_merge_configINS0_14default_configEmN2at4cuda3cub6detail10OpaqueTypeILi8EEEEEPmSC_PSA_SD_jNS1_19radix_merge_compareILb1ELb1EmNS0_19identity_decomposerEEEEEvT0_T1_T2_T3_T4_SL_jT5_PKSL_NS1_7vsmem_tE
                                        ; -- End function
	.set _ZN7rocprim17ROCPRIM_304000_NS6detail35device_block_merge_mergepath_kernelINS1_37wrapped_merge_sort_block_merge_configINS0_14default_configEmN2at4cuda3cub6detail10OpaqueTypeILi8EEEEEPmSC_PSA_SD_jNS1_19radix_merge_compareILb1ELb1EmNS0_19identity_decomposerEEEEEvT0_T1_T2_T3_T4_SL_jT5_PKSL_NS1_7vsmem_tE.num_vgpr, 45
	.set _ZN7rocprim17ROCPRIM_304000_NS6detail35device_block_merge_mergepath_kernelINS1_37wrapped_merge_sort_block_merge_configINS0_14default_configEmN2at4cuda3cub6detail10OpaqueTypeILi8EEEEEPmSC_PSA_SD_jNS1_19radix_merge_compareILb1ELb1EmNS0_19identity_decomposerEEEEEvT0_T1_T2_T3_T4_SL_jT5_PKSL_NS1_7vsmem_tE.num_agpr, 0
	.set _ZN7rocprim17ROCPRIM_304000_NS6detail35device_block_merge_mergepath_kernelINS1_37wrapped_merge_sort_block_merge_configINS0_14default_configEmN2at4cuda3cub6detail10OpaqueTypeILi8EEEEEPmSC_PSA_SD_jNS1_19radix_merge_compareILb1ELb1EmNS0_19identity_decomposerEEEEEvT0_T1_T2_T3_T4_SL_jT5_PKSL_NS1_7vsmem_tE.numbered_sgpr, 36
	.set _ZN7rocprim17ROCPRIM_304000_NS6detail35device_block_merge_mergepath_kernelINS1_37wrapped_merge_sort_block_merge_configINS0_14default_configEmN2at4cuda3cub6detail10OpaqueTypeILi8EEEEEPmSC_PSA_SD_jNS1_19radix_merge_compareILb1ELb1EmNS0_19identity_decomposerEEEEEvT0_T1_T2_T3_T4_SL_jT5_PKSL_NS1_7vsmem_tE.num_named_barrier, 0
	.set _ZN7rocprim17ROCPRIM_304000_NS6detail35device_block_merge_mergepath_kernelINS1_37wrapped_merge_sort_block_merge_configINS0_14default_configEmN2at4cuda3cub6detail10OpaqueTypeILi8EEEEEPmSC_PSA_SD_jNS1_19radix_merge_compareILb1ELb1EmNS0_19identity_decomposerEEEEEvT0_T1_T2_T3_T4_SL_jT5_PKSL_NS1_7vsmem_tE.private_seg_size, 0
	.set _ZN7rocprim17ROCPRIM_304000_NS6detail35device_block_merge_mergepath_kernelINS1_37wrapped_merge_sort_block_merge_configINS0_14default_configEmN2at4cuda3cub6detail10OpaqueTypeILi8EEEEEPmSC_PSA_SD_jNS1_19radix_merge_compareILb1ELb1EmNS0_19identity_decomposerEEEEEvT0_T1_T2_T3_T4_SL_jT5_PKSL_NS1_7vsmem_tE.uses_vcc, 1
	.set _ZN7rocprim17ROCPRIM_304000_NS6detail35device_block_merge_mergepath_kernelINS1_37wrapped_merge_sort_block_merge_configINS0_14default_configEmN2at4cuda3cub6detail10OpaqueTypeILi8EEEEEPmSC_PSA_SD_jNS1_19radix_merge_compareILb1ELb1EmNS0_19identity_decomposerEEEEEvT0_T1_T2_T3_T4_SL_jT5_PKSL_NS1_7vsmem_tE.uses_flat_scratch, 0
	.set _ZN7rocprim17ROCPRIM_304000_NS6detail35device_block_merge_mergepath_kernelINS1_37wrapped_merge_sort_block_merge_configINS0_14default_configEmN2at4cuda3cub6detail10OpaqueTypeILi8EEEEEPmSC_PSA_SD_jNS1_19radix_merge_compareILb1ELb1EmNS0_19identity_decomposerEEEEEvT0_T1_T2_T3_T4_SL_jT5_PKSL_NS1_7vsmem_tE.has_dyn_sized_stack, 0
	.set _ZN7rocprim17ROCPRIM_304000_NS6detail35device_block_merge_mergepath_kernelINS1_37wrapped_merge_sort_block_merge_configINS0_14default_configEmN2at4cuda3cub6detail10OpaqueTypeILi8EEEEEPmSC_PSA_SD_jNS1_19radix_merge_compareILb1ELb1EmNS0_19identity_decomposerEEEEEvT0_T1_T2_T3_T4_SL_jT5_PKSL_NS1_7vsmem_tE.has_recursion, 0
	.set _ZN7rocprim17ROCPRIM_304000_NS6detail35device_block_merge_mergepath_kernelINS1_37wrapped_merge_sort_block_merge_configINS0_14default_configEmN2at4cuda3cub6detail10OpaqueTypeILi8EEEEEPmSC_PSA_SD_jNS1_19radix_merge_compareILb1ELb1EmNS0_19identity_decomposerEEEEEvT0_T1_T2_T3_T4_SL_jT5_PKSL_NS1_7vsmem_tE.has_indirect_call, 0
	.section	.AMDGPU.csdata,"",@progbits
; Kernel info:
; codeLenInByte = 6412
; TotalNumSgprs: 40
; NumVgprs: 45
; ScratchSize: 0
; MemoryBound: 1
; FloatMode: 240
; IeeeMode: 1
; LDSByteSize: 8448 bytes/workgroup (compile time only)
; SGPRBlocks: 12
; VGPRBlocks: 12
; NumSGPRsForWavesPerEU: 102
; NumVGPRsForWavesPerEU: 49
; Occupancy: 4
; WaveLimiterHint : 1
; COMPUTE_PGM_RSRC2:SCRATCH_EN: 0
; COMPUTE_PGM_RSRC2:USER_SGPR: 6
; COMPUTE_PGM_RSRC2:TRAP_HANDLER: 0
; COMPUTE_PGM_RSRC2:TGID_X_EN: 1
; COMPUTE_PGM_RSRC2:TGID_Y_EN: 1
; COMPUTE_PGM_RSRC2:TGID_Z_EN: 1
; COMPUTE_PGM_RSRC2:TIDIG_COMP_CNT: 0
	.section	.text._ZN7rocprim17ROCPRIM_304000_NS6detail33device_block_merge_oddeven_kernelINS1_37wrapped_merge_sort_block_merge_configINS0_14default_configEmN2at4cuda3cub6detail10OpaqueTypeILi8EEEEEPmSC_PSA_SD_jNS1_19radix_merge_compareILb1ELb1EmNS0_19identity_decomposerEEEEEvT0_T1_T2_T3_T4_SL_T5_,"axG",@progbits,_ZN7rocprim17ROCPRIM_304000_NS6detail33device_block_merge_oddeven_kernelINS1_37wrapped_merge_sort_block_merge_configINS0_14default_configEmN2at4cuda3cub6detail10OpaqueTypeILi8EEEEEPmSC_PSA_SD_jNS1_19radix_merge_compareILb1ELb1EmNS0_19identity_decomposerEEEEEvT0_T1_T2_T3_T4_SL_T5_,comdat
	.protected	_ZN7rocprim17ROCPRIM_304000_NS6detail33device_block_merge_oddeven_kernelINS1_37wrapped_merge_sort_block_merge_configINS0_14default_configEmN2at4cuda3cub6detail10OpaqueTypeILi8EEEEEPmSC_PSA_SD_jNS1_19radix_merge_compareILb1ELb1EmNS0_19identity_decomposerEEEEEvT0_T1_T2_T3_T4_SL_T5_ ; -- Begin function _ZN7rocprim17ROCPRIM_304000_NS6detail33device_block_merge_oddeven_kernelINS1_37wrapped_merge_sort_block_merge_configINS0_14default_configEmN2at4cuda3cub6detail10OpaqueTypeILi8EEEEEPmSC_PSA_SD_jNS1_19radix_merge_compareILb1ELb1EmNS0_19identity_decomposerEEEEEvT0_T1_T2_T3_T4_SL_T5_
	.globl	_ZN7rocprim17ROCPRIM_304000_NS6detail33device_block_merge_oddeven_kernelINS1_37wrapped_merge_sort_block_merge_configINS0_14default_configEmN2at4cuda3cub6detail10OpaqueTypeILi8EEEEEPmSC_PSA_SD_jNS1_19radix_merge_compareILb1ELb1EmNS0_19identity_decomposerEEEEEvT0_T1_T2_T3_T4_SL_T5_
	.p2align	8
	.type	_ZN7rocprim17ROCPRIM_304000_NS6detail33device_block_merge_oddeven_kernelINS1_37wrapped_merge_sort_block_merge_configINS0_14default_configEmN2at4cuda3cub6detail10OpaqueTypeILi8EEEEEPmSC_PSA_SD_jNS1_19radix_merge_compareILb1ELb1EmNS0_19identity_decomposerEEEEEvT0_T1_T2_T3_T4_SL_T5_,@function
_ZN7rocprim17ROCPRIM_304000_NS6detail33device_block_merge_oddeven_kernelINS1_37wrapped_merge_sort_block_merge_configINS0_14default_configEmN2at4cuda3cub6detail10OpaqueTypeILi8EEEEEPmSC_PSA_SD_jNS1_19radix_merge_compareILb1ELb1EmNS0_19identity_decomposerEEEEEvT0_T1_T2_T3_T4_SL_T5_: ; @_ZN7rocprim17ROCPRIM_304000_NS6detail33device_block_merge_oddeven_kernelINS1_37wrapped_merge_sort_block_merge_configINS0_14default_configEmN2at4cuda3cub6detail10OpaqueTypeILi8EEEEEPmSC_PSA_SD_jNS1_19radix_merge_compareILb1ELb1EmNS0_19identity_decomposerEEEEEvT0_T1_T2_T3_T4_SL_T5_
; %bb.0:
	s_load_dwordx2 s[18:19], s[4:5], 0x20
	s_waitcnt lgkmcnt(0)
	s_lshr_b32 s0, s18, 8
	s_cmp_eq_u32 s6, s0
	s_cselect_b64 s[16:17], -1, 0
	s_cmp_lg_u32 s6, s0
	s_cselect_b64 s[0:1], -1, 0
	s_lshl_b32 s20, s6, 8
	s_sub_i32 s2, s18, s20
	v_cmp_gt_u32_e64 s[2:3], s2, v0
	s_or_b64 s[0:1], s[0:1], s[2:3]
	s_and_saveexec_b64 s[8:9], s[0:1]
	s_cbranch_execz .LBB9_24
; %bb.1:
	s_load_dwordx8 s[8:15], s[4:5], 0x0
	s_mov_b32 s21, 0
	s_lshl_b64 s[0:1], s[20:21], 3
	v_lshlrev_b32_e32 v5, 3, v0
	s_waitcnt lgkmcnt(0)
	s_add_u32 s22, s8, s0
	s_addc_u32 s23, s9, s1
	s_add_u32 s0, s12, s0
	s_addc_u32 s1, s13, s1
	global_load_dwordx2 v[1:2], v5, s[0:1]
	global_load_dwordx2 v[3:4], v5, s[22:23]
	s_lshr_b32 s0, s19, 8
	s_sub_i32 s1, 0, s0
	s_and_b32 s1, s6, s1
	s_and_b32 s0, s1, s0
	s_lshl_b32 s21, s1, 8
	s_sub_i32 s12, 0, s19
	s_cmp_eq_u32 s0, 0
	s_cselect_b64 s[0:1], -1, 0
	s_and_b64 s[6:7], s[0:1], exec
	s_cselect_b32 s12, s19, s12
	s_add_i32 s12, s12, s21
	s_mov_b64 s[6:7], -1
	s_cmp_gt_u32 s18, s12
	v_add_u32_e32 v5, s20, v0
	s_cbranch_scc1 .LBB9_9
; %bb.2:
	s_and_b64 vcc, exec, s[16:17]
	s_cbranch_vccz .LBB9_6
; %bb.3:
	v_cmp_gt_u32_e32 vcc, s18, v5
	s_and_saveexec_b64 s[6:7], vcc
	s_cbranch_execz .LBB9_5
; %bb.4:
	v_mov_b32_e32 v6, 0
	v_lshlrev_b64 v[6:7], 3, v[5:6]
	v_mov_b32_e32 v0, s15
	v_add_co_u32_e32 v8, vcc, s14, v6
	v_addc_co_u32_e32 v9, vcc, v0, v7, vcc
	v_mov_b32_e32 v0, s11
	v_add_co_u32_e32 v6, vcc, s10, v6
	v_addc_co_u32_e32 v7, vcc, v0, v7, vcc
	s_waitcnt vmcnt(0)
	global_store_dwordx2 v[6:7], v[3:4], off
	global_store_dwordx2 v[8:9], v[1:2], off
.LBB9_5:
	s_or_b64 exec, exec, s[6:7]
	s_mov_b64 s[6:7], 0
.LBB9_6:
	s_andn2_b64 vcc, exec, s[6:7]
	s_cbranch_vccnz .LBB9_8
; %bb.7:
	v_mov_b32_e32 v6, 0
	v_lshlrev_b64 v[6:7], 3, v[5:6]
	v_mov_b32_e32 v0, s11
	v_add_co_u32_e32 v8, vcc, s10, v6
	v_addc_co_u32_e32 v9, vcc, v0, v7, vcc
	v_mov_b32_e32 v0, s15
	v_add_co_u32_e32 v6, vcc, s14, v6
	v_addc_co_u32_e32 v7, vcc, v0, v7, vcc
	s_waitcnt vmcnt(0)
	global_store_dwordx2 v[8:9], v[3:4], off
	global_store_dwordx2 v[6:7], v[1:2], off
.LBB9_8:
	s_mov_b64 s[6:7], 0
.LBB9_9:
	s_andn2_b64 vcc, exec, s[6:7]
	s_cbranch_vccnz .LBB9_24
; %bb.10:
	s_load_dwordx2 s[4:5], s[4:5], 0x28
	s_min_u32 s13, s12, s18
	s_add_i32 s6, s13, s19
	s_min_u32 s18, s6, s18
	s_min_u32 s6, s21, s13
	s_add_i32 s21, s21, s13
	v_subrev_u32_e32 v0, s21, v5
	v_add_u32_e32 v0, s6, v0
	s_waitcnt vmcnt(0) lgkmcnt(0)
	v_and_b32_e32 v6, s5, v4
	v_and_b32_e32 v5, s4, v3
	s_mov_b64 s[6:7], -1
	s_and_b64 vcc, exec, s[16:17]
	s_cbranch_vccz .LBB9_18
; %bb.11:
	s_and_saveexec_b64 s[6:7], s[2:3]
	s_cbranch_execz .LBB9_17
; %bb.12:
	s_cmp_ge_u32 s12, s18
	v_mov_b32_e32 v9, s13
	s_cbranch_scc1 .LBB9_16
; %bb.13:
	s_mov_b64 s[2:3], 0
	v_mov_b32_e32 v10, s18
	v_mov_b32_e32 v9, s13
	;; [unrolled: 1-line block ×4, first 2 shown]
.LBB9_14:                               ; =>This Inner Loop Header: Depth=1
	v_add_u32_e32 v7, v9, v10
	v_lshrrev_b32_e32 v7, 1, v7
	v_lshlrev_b64 v[12:13], 3, v[7:8]
	v_add_u32_e32 v14, 1, v7
	v_add_co_u32_e32 v12, vcc, s8, v12
	v_addc_co_u32_e32 v13, vcc, v11, v13, vcc
	global_load_dwordx2 v[12:13], v[12:13], off
	s_waitcnt vmcnt(0)
	v_and_b32_e32 v13, s5, v13
	v_and_b32_e32 v12, s4, v12
	v_cmp_gt_u64_e32 vcc, v[12:13], v[5:6]
	v_cndmask_b32_e64 v15, 0, 1, vcc
	v_cmp_le_u64_e32 vcc, v[5:6], v[12:13]
	v_cndmask_b32_e64 v12, 0, 1, vcc
	v_cndmask_b32_e64 v12, v12, v15, s[0:1]
	v_and_b32_e32 v12, 1, v12
	v_cmp_eq_u32_e32 vcc, 1, v12
	v_cndmask_b32_e32 v10, v7, v10, vcc
	v_cndmask_b32_e32 v9, v9, v14, vcc
	v_cmp_ge_u32_e32 vcc, v9, v10
	s_or_b64 s[2:3], vcc, s[2:3]
	s_andn2_b64 exec, exec, s[2:3]
	s_cbranch_execnz .LBB9_14
; %bb.15:
	s_or_b64 exec, exec, s[2:3]
.LBB9_16:
	v_add_u32_e32 v7, v9, v0
	v_mov_b32_e32 v8, 0
	v_lshlrev_b64 v[7:8], 3, v[7:8]
	v_mov_b32_e32 v10, s11
	v_add_co_u32_e32 v9, vcc, s10, v7
	v_addc_co_u32_e32 v10, vcc, v10, v8, vcc
	global_store_dwordx2 v[9:10], v[3:4], off
	v_mov_b32_e32 v9, s15
	v_add_co_u32_e32 v7, vcc, s14, v7
	v_addc_co_u32_e32 v8, vcc, v9, v8, vcc
	global_store_dwordx2 v[7:8], v[1:2], off
.LBB9_17:
	s_or_b64 exec, exec, s[6:7]
	s_mov_b64 s[6:7], 0
.LBB9_18:
	s_andn2_b64 vcc, exec, s[6:7]
	s_cbranch_vccnz .LBB9_24
; %bb.19:
	s_cmp_ge_u32 s12, s18
	v_mov_b32_e32 v9, s13
	s_cbranch_scc1 .LBB9_23
; %bb.20:
	s_mov_b64 s[2:3], 0
	v_mov_b32_e32 v10, s18
	v_mov_b32_e32 v9, s13
	;; [unrolled: 1-line block ×4, first 2 shown]
.LBB9_21:                               ; =>This Inner Loop Header: Depth=1
	v_add_u32_e32 v7, v9, v10
	v_lshrrev_b32_e32 v7, 1, v7
	v_lshlrev_b64 v[12:13], 3, v[7:8]
	v_add_u32_e32 v14, 1, v7
	v_add_co_u32_e32 v12, vcc, s8, v12
	v_addc_co_u32_e32 v13, vcc, v11, v13, vcc
	global_load_dwordx2 v[12:13], v[12:13], off
	s_waitcnt vmcnt(0)
	v_and_b32_e32 v13, s5, v13
	v_and_b32_e32 v12, s4, v12
	v_cmp_gt_u64_e32 vcc, v[12:13], v[5:6]
	v_cndmask_b32_e64 v15, 0, 1, vcc
	v_cmp_le_u64_e32 vcc, v[5:6], v[12:13]
	v_cndmask_b32_e64 v12, 0, 1, vcc
	v_cndmask_b32_e64 v12, v12, v15, s[0:1]
	v_and_b32_e32 v12, 1, v12
	v_cmp_eq_u32_e32 vcc, 1, v12
	v_cndmask_b32_e32 v10, v7, v10, vcc
	v_cndmask_b32_e32 v9, v9, v14, vcc
	v_cmp_ge_u32_e32 vcc, v9, v10
	s_or_b64 s[2:3], vcc, s[2:3]
	s_andn2_b64 exec, exec, s[2:3]
	s_cbranch_execnz .LBB9_21
; %bb.22:
	s_or_b64 exec, exec, s[2:3]
.LBB9_23:
	v_add_u32_e32 v5, v9, v0
	v_mov_b32_e32 v6, 0
	v_lshlrev_b64 v[5:6], 3, v[5:6]
	v_mov_b32_e32 v0, s11
	v_add_co_u32_e32 v7, vcc, s10, v5
	v_addc_co_u32_e32 v8, vcc, v0, v6, vcc
	global_store_dwordx2 v[7:8], v[3:4], off
	v_mov_b32_e32 v0, s15
	v_add_co_u32_e32 v3, vcc, s14, v5
	v_addc_co_u32_e32 v4, vcc, v0, v6, vcc
	global_store_dwordx2 v[3:4], v[1:2], off
.LBB9_24:
	s_endpgm
	.section	.rodata,"a",@progbits
	.p2align	6, 0x0
	.amdhsa_kernel _ZN7rocprim17ROCPRIM_304000_NS6detail33device_block_merge_oddeven_kernelINS1_37wrapped_merge_sort_block_merge_configINS0_14default_configEmN2at4cuda3cub6detail10OpaqueTypeILi8EEEEEPmSC_PSA_SD_jNS1_19radix_merge_compareILb1ELb1EmNS0_19identity_decomposerEEEEEvT0_T1_T2_T3_T4_SL_T5_
		.amdhsa_group_segment_fixed_size 0
		.amdhsa_private_segment_fixed_size 0
		.amdhsa_kernarg_size 48
		.amdhsa_user_sgpr_count 6
		.amdhsa_user_sgpr_private_segment_buffer 1
		.amdhsa_user_sgpr_dispatch_ptr 0
		.amdhsa_user_sgpr_queue_ptr 0
		.amdhsa_user_sgpr_kernarg_segment_ptr 1
		.amdhsa_user_sgpr_dispatch_id 0
		.amdhsa_user_sgpr_flat_scratch_init 0
		.amdhsa_user_sgpr_private_segment_size 0
		.amdhsa_uses_dynamic_stack 0
		.amdhsa_system_sgpr_private_segment_wavefront_offset 0
		.amdhsa_system_sgpr_workgroup_id_x 1
		.amdhsa_system_sgpr_workgroup_id_y 0
		.amdhsa_system_sgpr_workgroup_id_z 0
		.amdhsa_system_sgpr_workgroup_info 0
		.amdhsa_system_vgpr_workitem_id 0
		.amdhsa_next_free_vgpr 16
		.amdhsa_next_free_sgpr 24
		.amdhsa_reserve_vcc 1
		.amdhsa_reserve_flat_scratch 0
		.amdhsa_float_round_mode_32 0
		.amdhsa_float_round_mode_16_64 0
		.amdhsa_float_denorm_mode_32 3
		.amdhsa_float_denorm_mode_16_64 3
		.amdhsa_dx10_clamp 1
		.amdhsa_ieee_mode 1
		.amdhsa_fp16_overflow 0
		.amdhsa_exception_fp_ieee_invalid_op 0
		.amdhsa_exception_fp_denorm_src 0
		.amdhsa_exception_fp_ieee_div_zero 0
		.amdhsa_exception_fp_ieee_overflow 0
		.amdhsa_exception_fp_ieee_underflow 0
		.amdhsa_exception_fp_ieee_inexact 0
		.amdhsa_exception_int_div_zero 0
	.end_amdhsa_kernel
	.section	.text._ZN7rocprim17ROCPRIM_304000_NS6detail33device_block_merge_oddeven_kernelINS1_37wrapped_merge_sort_block_merge_configINS0_14default_configEmN2at4cuda3cub6detail10OpaqueTypeILi8EEEEEPmSC_PSA_SD_jNS1_19radix_merge_compareILb1ELb1EmNS0_19identity_decomposerEEEEEvT0_T1_T2_T3_T4_SL_T5_,"axG",@progbits,_ZN7rocprim17ROCPRIM_304000_NS6detail33device_block_merge_oddeven_kernelINS1_37wrapped_merge_sort_block_merge_configINS0_14default_configEmN2at4cuda3cub6detail10OpaqueTypeILi8EEEEEPmSC_PSA_SD_jNS1_19radix_merge_compareILb1ELb1EmNS0_19identity_decomposerEEEEEvT0_T1_T2_T3_T4_SL_T5_,comdat
.Lfunc_end9:
	.size	_ZN7rocprim17ROCPRIM_304000_NS6detail33device_block_merge_oddeven_kernelINS1_37wrapped_merge_sort_block_merge_configINS0_14default_configEmN2at4cuda3cub6detail10OpaqueTypeILi8EEEEEPmSC_PSA_SD_jNS1_19radix_merge_compareILb1ELb1EmNS0_19identity_decomposerEEEEEvT0_T1_T2_T3_T4_SL_T5_, .Lfunc_end9-_ZN7rocprim17ROCPRIM_304000_NS6detail33device_block_merge_oddeven_kernelINS1_37wrapped_merge_sort_block_merge_configINS0_14default_configEmN2at4cuda3cub6detail10OpaqueTypeILi8EEEEEPmSC_PSA_SD_jNS1_19radix_merge_compareILb1ELb1EmNS0_19identity_decomposerEEEEEvT0_T1_T2_T3_T4_SL_T5_
                                        ; -- End function
	.set _ZN7rocprim17ROCPRIM_304000_NS6detail33device_block_merge_oddeven_kernelINS1_37wrapped_merge_sort_block_merge_configINS0_14default_configEmN2at4cuda3cub6detail10OpaqueTypeILi8EEEEEPmSC_PSA_SD_jNS1_19radix_merge_compareILb1ELb1EmNS0_19identity_decomposerEEEEEvT0_T1_T2_T3_T4_SL_T5_.num_vgpr, 16
	.set _ZN7rocprim17ROCPRIM_304000_NS6detail33device_block_merge_oddeven_kernelINS1_37wrapped_merge_sort_block_merge_configINS0_14default_configEmN2at4cuda3cub6detail10OpaqueTypeILi8EEEEEPmSC_PSA_SD_jNS1_19radix_merge_compareILb1ELb1EmNS0_19identity_decomposerEEEEEvT0_T1_T2_T3_T4_SL_T5_.num_agpr, 0
	.set _ZN7rocprim17ROCPRIM_304000_NS6detail33device_block_merge_oddeven_kernelINS1_37wrapped_merge_sort_block_merge_configINS0_14default_configEmN2at4cuda3cub6detail10OpaqueTypeILi8EEEEEPmSC_PSA_SD_jNS1_19radix_merge_compareILb1ELb1EmNS0_19identity_decomposerEEEEEvT0_T1_T2_T3_T4_SL_T5_.numbered_sgpr, 24
	.set _ZN7rocprim17ROCPRIM_304000_NS6detail33device_block_merge_oddeven_kernelINS1_37wrapped_merge_sort_block_merge_configINS0_14default_configEmN2at4cuda3cub6detail10OpaqueTypeILi8EEEEEPmSC_PSA_SD_jNS1_19radix_merge_compareILb1ELb1EmNS0_19identity_decomposerEEEEEvT0_T1_T2_T3_T4_SL_T5_.num_named_barrier, 0
	.set _ZN7rocprim17ROCPRIM_304000_NS6detail33device_block_merge_oddeven_kernelINS1_37wrapped_merge_sort_block_merge_configINS0_14default_configEmN2at4cuda3cub6detail10OpaqueTypeILi8EEEEEPmSC_PSA_SD_jNS1_19radix_merge_compareILb1ELb1EmNS0_19identity_decomposerEEEEEvT0_T1_T2_T3_T4_SL_T5_.private_seg_size, 0
	.set _ZN7rocprim17ROCPRIM_304000_NS6detail33device_block_merge_oddeven_kernelINS1_37wrapped_merge_sort_block_merge_configINS0_14default_configEmN2at4cuda3cub6detail10OpaqueTypeILi8EEEEEPmSC_PSA_SD_jNS1_19radix_merge_compareILb1ELb1EmNS0_19identity_decomposerEEEEEvT0_T1_T2_T3_T4_SL_T5_.uses_vcc, 1
	.set _ZN7rocprim17ROCPRIM_304000_NS6detail33device_block_merge_oddeven_kernelINS1_37wrapped_merge_sort_block_merge_configINS0_14default_configEmN2at4cuda3cub6detail10OpaqueTypeILi8EEEEEPmSC_PSA_SD_jNS1_19radix_merge_compareILb1ELb1EmNS0_19identity_decomposerEEEEEvT0_T1_T2_T3_T4_SL_T5_.uses_flat_scratch, 0
	.set _ZN7rocprim17ROCPRIM_304000_NS6detail33device_block_merge_oddeven_kernelINS1_37wrapped_merge_sort_block_merge_configINS0_14default_configEmN2at4cuda3cub6detail10OpaqueTypeILi8EEEEEPmSC_PSA_SD_jNS1_19radix_merge_compareILb1ELb1EmNS0_19identity_decomposerEEEEEvT0_T1_T2_T3_T4_SL_T5_.has_dyn_sized_stack, 0
	.set _ZN7rocprim17ROCPRIM_304000_NS6detail33device_block_merge_oddeven_kernelINS1_37wrapped_merge_sort_block_merge_configINS0_14default_configEmN2at4cuda3cub6detail10OpaqueTypeILi8EEEEEPmSC_PSA_SD_jNS1_19radix_merge_compareILb1ELb1EmNS0_19identity_decomposerEEEEEvT0_T1_T2_T3_T4_SL_T5_.has_recursion, 0
	.set _ZN7rocprim17ROCPRIM_304000_NS6detail33device_block_merge_oddeven_kernelINS1_37wrapped_merge_sort_block_merge_configINS0_14default_configEmN2at4cuda3cub6detail10OpaqueTypeILi8EEEEEPmSC_PSA_SD_jNS1_19radix_merge_compareILb1ELb1EmNS0_19identity_decomposerEEEEEvT0_T1_T2_T3_T4_SL_T5_.has_indirect_call, 0
	.section	.AMDGPU.csdata,"",@progbits
; Kernel info:
; codeLenInByte = 832
; TotalNumSgprs: 28
; NumVgprs: 16
; ScratchSize: 0
; MemoryBound: 0
; FloatMode: 240
; IeeeMode: 1
; LDSByteSize: 0 bytes/workgroup (compile time only)
; SGPRBlocks: 3
; VGPRBlocks: 3
; NumSGPRsForWavesPerEU: 28
; NumVGPRsForWavesPerEU: 16
; Occupancy: 10
; WaveLimiterHint : 0
; COMPUTE_PGM_RSRC2:SCRATCH_EN: 0
; COMPUTE_PGM_RSRC2:USER_SGPR: 6
; COMPUTE_PGM_RSRC2:TRAP_HANDLER: 0
; COMPUTE_PGM_RSRC2:TGID_X_EN: 1
; COMPUTE_PGM_RSRC2:TGID_Y_EN: 0
; COMPUTE_PGM_RSRC2:TGID_Z_EN: 0
; COMPUTE_PGM_RSRC2:TIDIG_COMP_CNT: 0
	.section	.text._ZN7rocprim17ROCPRIM_304000_NS6detail26onesweep_histograms_kernelINS1_34wrapped_radix_sort_onesweep_configINS0_14default_configEmN2at4cuda3cub6detail10OpaqueTypeILi8EEEEELb1EPKmmNS0_19identity_decomposerEEEvT1_PT2_SG_SG_T3_jj,"axG",@progbits,_ZN7rocprim17ROCPRIM_304000_NS6detail26onesweep_histograms_kernelINS1_34wrapped_radix_sort_onesweep_configINS0_14default_configEmN2at4cuda3cub6detail10OpaqueTypeILi8EEEEELb1EPKmmNS0_19identity_decomposerEEEvT1_PT2_SG_SG_T3_jj,comdat
	.protected	_ZN7rocprim17ROCPRIM_304000_NS6detail26onesweep_histograms_kernelINS1_34wrapped_radix_sort_onesweep_configINS0_14default_configEmN2at4cuda3cub6detail10OpaqueTypeILi8EEEEELb1EPKmmNS0_19identity_decomposerEEEvT1_PT2_SG_SG_T3_jj ; -- Begin function _ZN7rocprim17ROCPRIM_304000_NS6detail26onesweep_histograms_kernelINS1_34wrapped_radix_sort_onesweep_configINS0_14default_configEmN2at4cuda3cub6detail10OpaqueTypeILi8EEEEELb1EPKmmNS0_19identity_decomposerEEEvT1_PT2_SG_SG_T3_jj
	.globl	_ZN7rocprim17ROCPRIM_304000_NS6detail26onesweep_histograms_kernelINS1_34wrapped_radix_sort_onesweep_configINS0_14default_configEmN2at4cuda3cub6detail10OpaqueTypeILi8EEEEELb1EPKmmNS0_19identity_decomposerEEEvT1_PT2_SG_SG_T3_jj
	.p2align	8
	.type	_ZN7rocprim17ROCPRIM_304000_NS6detail26onesweep_histograms_kernelINS1_34wrapped_radix_sort_onesweep_configINS0_14default_configEmN2at4cuda3cub6detail10OpaqueTypeILi8EEEEELb1EPKmmNS0_19identity_decomposerEEEvT1_PT2_SG_SG_T3_jj,@function
_ZN7rocprim17ROCPRIM_304000_NS6detail26onesweep_histograms_kernelINS1_34wrapped_radix_sort_onesweep_configINS0_14default_configEmN2at4cuda3cub6detail10OpaqueTypeILi8EEEEELb1EPKmmNS0_19identity_decomposerEEEvT1_PT2_SG_SG_T3_jj: ; @_ZN7rocprim17ROCPRIM_304000_NS6detail26onesweep_histograms_kernelINS1_34wrapped_radix_sort_onesweep_configINS0_14default_configEmN2at4cuda3cub6detail10OpaqueTypeILi8EEEEELb1EPKmmNS0_19identity_decomposerEEEvT1_PT2_SG_SG_T3_jj
; %bb.0:
	s_load_dwordx8 s[12:19], s[4:5], 0x0
	s_load_dwordx2 s[20:21], s[4:5], 0x24
	v_mov_b32_e32 v1, s6
	v_mov_b32_e32 v2, 0
	s_mul_hi_u32 s0, s6, 0x6000
	s_waitcnt lgkmcnt(0)
	v_cmp_le_u64_e32 vcc, s[18:19], v[1:2]
	s_mulk_i32 s6, 0x6000
	s_add_u32 s12, s12, s6
	s_addc_u32 s13, s13, s0
	s_mov_b64 s[0:1], -1
	v_lshlrev_b32_e32 v15, 3, v0
	s_cbranch_vccz .LBB10_46
; %bb.1:
	s_mul_i32 s0, s18, 0xfffff400
	s_add_i32 s16, s0, s16
	v_mov_b32_e32 v1, s13
	v_add_co_u32_e32 v13, vcc, s12, v15
	v_addc_co_u32_e32 v14, vcc, 0, v1, vcc
	v_cmp_gt_u32_e64 s[10:11], s16, v0
                                        ; implicit-def: $vgpr11_vgpr12
	s_and_saveexec_b64 s[0:1], s[10:11]
	s_cbranch_execz .LBB10_3
; %bb.2:
	global_load_dwordx2 v[1:2], v[13:14], off
	s_waitcnt vmcnt(0)
	v_not_b32_e32 v12, v2
	v_not_b32_e32 v11, v1
.LBB10_3:
	s_or_b64 exec, exec, s[0:1]
	v_or_b32_e32 v1, 0x200, v0
	v_cmp_gt_u32_e64 s[8:9], s16, v1
                                        ; implicit-def: $vgpr9_vgpr10
	s_and_saveexec_b64 s[0:1], s[8:9]
	s_cbranch_execz .LBB10_5
; %bb.4:
	v_add_co_u32_e32 v1, vcc, 0x1000, v13
	v_addc_co_u32_e32 v2, vcc, 0, v14, vcc
	global_load_dwordx2 v[1:2], v[1:2], off
	s_waitcnt vmcnt(0)
	v_not_b32_e32 v10, v2
	v_not_b32_e32 v9, v1
.LBB10_5:
	s_or_b64 exec, exec, s[0:1]
	v_or_b32_e32 v1, 0x400, v0
	v_cmp_gt_u32_e64 s[6:7], s16, v1
                                        ; implicit-def: $vgpr7_vgpr8
	s_and_saveexec_b64 s[0:1], s[6:7]
	s_cbranch_execz .LBB10_7
; %bb.6:
	v_add_co_u32_e32 v1, vcc, 0x2000, v13
	v_addc_co_u32_e32 v2, vcc, 0, v14, vcc
	global_load_dwordx2 v[1:2], v[1:2], off
	s_waitcnt vmcnt(0)
	v_not_b32_e32 v8, v2
	v_not_b32_e32 v7, v1
.LBB10_7:
	s_or_b64 exec, exec, s[0:1]
	v_or_b32_e32 v1, 0x600, v0
	v_cmp_gt_u32_e64 s[4:5], s16, v1
                                        ; implicit-def: $vgpr5_vgpr6
	s_and_saveexec_b64 s[0:1], s[4:5]
	s_cbranch_execz .LBB10_9
; %bb.8:
	v_add_co_u32_e32 v1, vcc, 0x3000, v13
	v_addc_co_u32_e32 v2, vcc, 0, v14, vcc
	global_load_dwordx2 v[1:2], v[1:2], off
	s_waitcnt vmcnt(0)
	v_not_b32_e32 v6, v2
	v_not_b32_e32 v5, v1
.LBB10_9:
	s_or_b64 exec, exec, s[0:1]
	v_or_b32_e32 v1, 0x800, v0
	v_cmp_gt_u32_e64 s[2:3], s16, v1
                                        ; implicit-def: $vgpr3_vgpr4
	s_and_saveexec_b64 s[0:1], s[2:3]
	s_cbranch_execz .LBB10_11
; %bb.10:
	v_add_co_u32_e32 v1, vcc, 0x4000, v13
	v_addc_co_u32_e32 v2, vcc, 0, v14, vcc
	global_load_dwordx2 v[1:2], v[1:2], off
	s_waitcnt vmcnt(0)
	v_not_b32_e32 v4, v2
	v_not_b32_e32 v3, v1
.LBB10_11:
	s_or_b64 exec, exec, s[0:1]
	v_or_b32_e32 v1, 0xa00, v0
	v_cmp_gt_u32_e64 s[0:1], s16, v1
                                        ; implicit-def: $vgpr1_vgpr2
	s_and_saveexec_b64 s[16:17], s[0:1]
	s_cbranch_execz .LBB10_13
; %bb.12:
	v_add_co_u32_e32 v1, vcc, 0x5000, v13
	v_addc_co_u32_e32 v2, vcc, 0, v14, vcc
	global_load_dwordx2 v[1:2], v[1:2], off
	s_waitcnt vmcnt(0)
	v_not_b32_e32 v2, v2
	v_not_b32_e32 v1, v1
.LBB10_13:
	s_or_b64 exec, exec, s[16:17]
	v_or_b32_e32 v13, 0xfffffe00, v0
	v_lshlrev_b32_e32 v14, 2, v0
	s_mov_b64 s[16:17], 0
	v_mov_b32_e32 v16, 0
	s_movk_i32 s18, 0x1dff
.LBB10_14:                              ; =>This Inner Loop Header: Depth=1
	v_add_u32_e32 v13, 0x200, v13
	v_cmp_lt_u32_e32 vcc, s18, v13
	ds_write_b32 v14, v16
	s_or_b64 s[16:17], vcc, s[16:17]
	v_add_u32_e32 v14, 0x800, v14
	s_andn2_b64 exec, exec, s[16:17]
	s_cbranch_execnz .LBB10_14
; %bb.15:
	s_or_b64 exec, exec, s[16:17]
	s_cmp_gt_u32 s21, s20
	s_cselect_b64 s[16:17], -1, 0
	s_cmp_le_u32 s21, s20
	s_waitcnt lgkmcnt(0)
	s_barrier
	s_cbranch_scc1 .LBB10_40
; %bb.16:
	v_and_b32_e32 v13, 3, v0
	v_lshlrev_b32_e32 v13, 2, v13
	s_sub_i32 s22, s21, s20
	v_mov_b32_e32 v14, 1
	s_mov_b32 s23, s22
	v_mov_b32_e32 v16, v13
	s_mov_b32 s24, s20
	s_branch .LBB10_18
.LBB10_17:                              ;   in Loop: Header=BB10_18 Depth=1
	s_or_b64 exec, exec, s[18:19]
	s_add_i32 s24, s24, 8
	s_add_i32 s23, s23, -8
	s_cmp_lt_u32 s24, s21
	v_add_u32_e32 v16, 0x1000, v16
	s_cbranch_scc0 .LBB10_20
.LBB10_18:                              ; =>This Inner Loop Header: Depth=1
	s_and_saveexec_b64 s[18:19], s[10:11]
	s_cbranch_execz .LBB10_17
; %bb.19:                               ;   in Loop: Header=BB10_18 Depth=1
	v_lshrrev_b64 v[17:18], s24, v[11:12]
	s_min_u32 s25, s23, 8
	v_bfe_u32 v17, v17, 0, s25
	v_lshl_add_u32 v17, v17, 4, v16
	ds_add_u32 v17, v14
	s_branch .LBB10_17
.LBB10_20:
	v_mov_b32_e32 v11, 1
	s_mov_b32 s18, s22
	v_mov_b32_e32 v12, v13
	s_mov_b32 s19, s20
	s_branch .LBB10_22
.LBB10_21:                              ;   in Loop: Header=BB10_22 Depth=1
	s_or_b64 exec, exec, s[10:11]
	s_add_i32 s19, s19, 8
	s_add_i32 s18, s18, -8
	s_cmp_lt_u32 s19, s21
	v_add_u32_e32 v12, 0x1000, v12
	s_cbranch_scc0 .LBB10_24
.LBB10_22:                              ; =>This Inner Loop Header: Depth=1
	s_and_saveexec_b64 s[10:11], s[8:9]
	s_cbranch_execz .LBB10_21
; %bb.23:                               ;   in Loop: Header=BB10_22 Depth=1
	v_lshrrev_b64 v[16:17], s19, v[9:10]
	s_min_u32 s23, s18, 8
	v_bfe_u32 v14, v16, 0, s23
	v_lshl_add_u32 v14, v14, 4, v12
	ds_add_u32 v14, v11
	s_branch .LBB10_21
.LBB10_24:
	v_mov_b32_e32 v9, 1
	s_mov_b32 s10, s22
	v_mov_b32_e32 v10, v13
	s_mov_b32 s11, s20
	s_branch .LBB10_26
.LBB10_25:                              ;   in Loop: Header=BB10_26 Depth=1
	s_or_b64 exec, exec, s[8:9]
	s_add_i32 s11, s11, 8
	s_add_i32 s10, s10, -8
	s_cmp_lt_u32 s11, s21
	v_add_u32_e32 v10, 0x1000, v10
	s_cbranch_scc0 .LBB10_28
.LBB10_26:                              ; =>This Inner Loop Header: Depth=1
	s_and_saveexec_b64 s[8:9], s[6:7]
	s_cbranch_execz .LBB10_25
; %bb.27:                               ;   in Loop: Header=BB10_26 Depth=1
	v_lshrrev_b64 v[11:12], s11, v[7:8]
	s_min_u32 s18, s10, 8
	v_bfe_u32 v11, v11, 0, s18
	v_lshl_add_u32 v11, v11, 4, v10
	ds_add_u32 v11, v9
	s_branch .LBB10_25
.LBB10_28:
	v_mov_b32_e32 v7, 1
	s_mov_b32 s8, s22
	v_mov_b32_e32 v8, v13
	s_mov_b32 s9, s20
	s_branch .LBB10_30
.LBB10_29:                              ;   in Loop: Header=BB10_30 Depth=1
	s_or_b64 exec, exec, s[6:7]
	s_add_i32 s9, s9, 8
	s_add_i32 s8, s8, -8
	s_cmp_lt_u32 s9, s21
	v_add_u32_e32 v8, 0x1000, v8
	s_cbranch_scc0 .LBB10_32
.LBB10_30:                              ; =>This Inner Loop Header: Depth=1
	s_and_saveexec_b64 s[6:7], s[4:5]
	s_cbranch_execz .LBB10_29
; %bb.31:                               ;   in Loop: Header=BB10_30 Depth=1
	v_lshrrev_b64 v[9:10], s9, v[5:6]
	s_min_u32 s10, s8, 8
	v_bfe_u32 v9, v9, 0, s10
	v_lshl_add_u32 v9, v9, 4, v8
	ds_add_u32 v9, v7
	s_branch .LBB10_29
.LBB10_32:
	v_mov_b32_e32 v5, 1
	s_mov_b32 s6, s22
	v_mov_b32_e32 v6, v13
	s_mov_b32 s7, s20
	s_branch .LBB10_34
.LBB10_33:                              ;   in Loop: Header=BB10_34 Depth=1
	s_or_b64 exec, exec, s[4:5]
	s_add_i32 s7, s7, 8
	s_add_i32 s6, s6, -8
	s_cmp_lt_u32 s7, s21
	v_add_u32_e32 v6, 0x1000, v6
	s_cbranch_scc0 .LBB10_36
.LBB10_34:                              ; =>This Inner Loop Header: Depth=1
	s_and_saveexec_b64 s[4:5], s[2:3]
	s_cbranch_execz .LBB10_33
; %bb.35:                               ;   in Loop: Header=BB10_34 Depth=1
	v_lshrrev_b64 v[7:8], s7, v[3:4]
	s_min_u32 s8, s6, 8
	v_bfe_u32 v7, v7, 0, s8
	v_lshl_add_u32 v7, v7, 4, v6
	ds_add_u32 v7, v5
	s_branch .LBB10_33
.LBB10_36:
	v_mov_b32_e32 v3, 1
	s_mov_b32 s4, s20
	s_branch .LBB10_38
.LBB10_37:                              ;   in Loop: Header=BB10_38 Depth=1
	s_or_b64 exec, exec, s[2:3]
	s_add_i32 s4, s4, 8
	s_add_i32 s22, s22, -8
	s_cmp_lt_u32 s4, s21
	v_add_u32_e32 v13, 0x1000, v13
	s_cbranch_scc0 .LBB10_40
.LBB10_38:                              ; =>This Inner Loop Header: Depth=1
	s_and_saveexec_b64 s[2:3], s[0:1]
	s_cbranch_execz .LBB10_37
; %bb.39:                               ;   in Loop: Header=BB10_38 Depth=1
	v_lshrrev_b64 v[4:5], s4, v[1:2]
	s_min_u32 s5, s22, 8
	v_bfe_u32 v4, v4, 0, s5
	v_lshl_add_u32 v4, v4, 4, v13
	ds_add_u32 v4, v3
	s_branch .LBB10_37
.LBB10_40:
	s_and_b64 vcc, exec, s[16:17]
	s_waitcnt lgkmcnt(0)
	s_barrier
	s_cbranch_vccz .LBB10_45
; %bb.41:
	s_movk_i32 s0, 0x100
	v_cmp_gt_u32_e32 vcc, s0, v0
	v_lshlrev_b32_e32 v3, 4, v0
	v_mov_b32_e32 v2, 0
	v_mov_b32_e32 v1, v0
	s_mov_b32 s4, s20
	s_branch .LBB10_43
.LBB10_42:                              ;   in Loop: Header=BB10_43 Depth=1
	s_or_b64 exec, exec, s[2:3]
	s_add_i32 s4, s4, 8
	v_add_u32_e32 v1, 0x100, v1
	s_cmp_lt_u32 s4, s21
	v_add_u32_e32 v3, 0x1000, v3
	s_cbranch_scc0 .LBB10_45
.LBB10_43:                              ; =>This Inner Loop Header: Depth=1
	s_and_saveexec_b64 s[2:3], vcc
	s_cbranch_execz .LBB10_42
; %bb.44:                               ;   in Loop: Header=BB10_43 Depth=1
	ds_read2_b32 v[4:5], v3 offset1:1
	ds_read2_b32 v[6:7], v3 offset0:2 offset1:3
	v_lshlrev_b64 v[8:9], 3, v[1:2]
	v_mov_b32_e32 v10, s15
	s_waitcnt lgkmcnt(1)
	v_add_u32_e32 v4, v5, v4
	s_waitcnt lgkmcnt(0)
	v_add3_u32 v4, v4, v6, v7
	v_add_co_u32_e64 v6, s[0:1], s14, v8
	v_addc_co_u32_e64 v7, s[0:1], v10, v9, s[0:1]
	v_mov_b32_e32 v5, v2
	global_atomic_add_x2 v[6:7], v[4:5], off
	s_branch .LBB10_42
.LBB10_45:
	s_mov_b64 s[0:1], 0
.LBB10_46:
	s_and_b64 vcc, exec, s[0:1]
	s_cbranch_vccz .LBB10_74
; %bb.47:
	v_mov_b32_e32 v1, s13
	v_add_co_u32_e32 v18, vcc, s12, v15
	v_addc_co_u32_e32 v19, vcc, 0, v1, vcc
	v_add_co_u32_e32 v9, vcc, 0x1000, v18
	v_addc_co_u32_e32 v10, vcc, 0, v19, vcc
	;; [unrolled: 2-line block ×5, first 2 shown]
	global_load_dwordx2 v[7:8], v[9:10], off
	global_load_dwordx2 v[3:4], v[11:12], off
	global_load_dwordx2 v[1:2], v[13:14], off
	global_load_dwordx2 v[5:6], v[16:17], off
	v_add_co_u32_e32 v13, vcc, 0x5000, v18
	v_addc_co_u32_e32 v14, vcc, 0, v19, vcc
	global_load_dwordx2 v[11:12], v15, s[12:13]
	global_load_dwordx2 v[9:10], v[13:14], off
	s_cmp_eq_u32 s20, 0
	s_cselect_b64 s[0:1], -1, 0
	s_cmp_eq_u32 s21, 64
	s_cselect_b64 s[2:3], -1, 0
	s_and_b64 s[2:3], s[0:1], s[2:3]
	v_mov_b32_e32 v13, 0
	s_mov_b64 s[0:1], -1
	s_and_b64 vcc, exec, s[2:3]
	v_lshlrev_b32_e32 v16, 2, v0
	s_cbranch_vccnz .LBB10_69
; %bb.48:
	v_or_b32_e32 v14, 0xfffffe00, v0
	v_lshlrev_b32_e32 v17, 2, v0
	s_mov_b64 s[0:1], 0
	s_movk_i32 s2, 0x1dff
.LBB10_49:                              ; =>This Inner Loop Header: Depth=1
	v_add_u32_e32 v14, 0x200, v14
	v_cmp_lt_u32_e32 vcc, s2, v14
	ds_write_b32 v17, v13
	s_or_b64 s[0:1], vcc, s[0:1]
	v_add_u32_e32 v17, 0x800, v17
	s_andn2_b64 exec, exec, s[0:1]
	s_cbranch_execnz .LBB10_49
; %bb.50:
	s_or_b64 exec, exec, s[0:1]
	s_cmp_gt_u32 s21, s20
	s_cselect_b64 s[0:1], -1, 0
	s_cmp_le_u32 s21, s20
	s_waitcnt vmcnt(0) lgkmcnt(0)
	s_barrier
	s_cbranch_scc1 .LBB10_63
; %bb.51:
	v_and_b32_e32 v17, 3, v0
	v_lshlrev_b32_e32 v17, 2, v17
	s_sub_i32 s2, s21, s20
	v_not_b32_e32 v14, v12
	v_not_b32_e32 v13, v11
	v_mov_b32_e32 v18, 1
	s_mov_b32 s3, s2
	v_mov_b32_e32 v19, v17
	s_mov_b32 s4, s20
.LBB10_52:                              ; =>This Inner Loop Header: Depth=1
	v_lshrrev_b64 v[20:21], s4, v[13:14]
	s_min_u32 s5, s3, 8
	v_bfe_u32 v20, v20, 0, s5
	v_lshl_add_u32 v20, v20, 4, v19
	ds_add_u32 v20, v18
	s_add_i32 s4, s4, 8
	s_add_i32 s3, s3, -8
	s_cmp_lt_u32 s4, s21
	v_add_u32_e32 v19, 0x1000, v19
	s_cbranch_scc1 .LBB10_52
; %bb.53:
	v_not_b32_e32 v14, v8
	v_not_b32_e32 v13, v7
	v_mov_b32_e32 v18, 1
	s_mov_b32 s3, s2
	v_mov_b32_e32 v19, v17
	s_mov_b32 s4, s20
.LBB10_54:                              ; =>This Inner Loop Header: Depth=1
	v_lshrrev_b64 v[20:21], s4, v[13:14]
	s_min_u32 s5, s3, 8
	v_bfe_u32 v20, v20, 0, s5
	v_lshl_add_u32 v20, v20, 4, v19
	ds_add_u32 v20, v18
	s_add_i32 s4, s4, 8
	s_add_i32 s3, s3, -8
	s_cmp_lt_u32 s4, s21
	v_add_u32_e32 v19, 0x1000, v19
	s_cbranch_scc1 .LBB10_54
; %bb.55:
	;; [unrolled: 18-line block ×5, first 2 shown]
	v_not_b32_e32 v14, v10
	v_not_b32_e32 v13, v9
	v_mov_b32_e32 v18, 1
	s_mov_b32 s3, s20
.LBB10_62:                              ; =>This Inner Loop Header: Depth=1
	v_lshrrev_b64 v[19:20], s3, v[13:14]
	s_min_u32 s4, s2, 8
	v_bfe_u32 v19, v19, 0, s4
	v_lshl_add_u32 v19, v19, 4, v17
	ds_add_u32 v19, v18
	s_add_i32 s3, s3, 8
	s_add_i32 s2, s2, -8
	s_cmp_lt_u32 s3, s21
	v_add_u32_e32 v17, 0x1000, v17
	s_cbranch_scc1 .LBB10_62
.LBB10_63:
	s_and_b64 vcc, exec, s[0:1]
	s_waitcnt lgkmcnt(0)
	s_barrier
	s_cbranch_vccz .LBB10_68
; %bb.64:
	s_movk_i32 s0, 0x100
	v_cmp_gt_u32_e32 vcc, s0, v0
	v_lshlrev_b32_e32 v17, 4, v0
	v_mov_b32_e32 v14, 0
	v_mov_b32_e32 v13, v0
	s_branch .LBB10_66
.LBB10_65:                              ;   in Loop: Header=BB10_66 Depth=1
	s_or_b64 exec, exec, s[2:3]
	s_add_i32 s20, s20, 8
	v_add_u32_e32 v13, 0x100, v13
	s_cmp_ge_u32 s20, s21
	v_add_u32_e32 v17, 0x1000, v17
	s_cbranch_scc1 .LBB10_68
.LBB10_66:                              ; =>This Inner Loop Header: Depth=1
	s_and_saveexec_b64 s[2:3], vcc
	s_cbranch_execz .LBB10_65
; %bb.67:                               ;   in Loop: Header=BB10_66 Depth=1
	ds_read2_b32 v[18:19], v17 offset1:1
	ds_read2_b32 v[20:21], v17 offset0:2 offset1:3
	v_lshlrev_b64 v[22:23], 3, v[13:14]
	v_mov_b32_e32 v24, s15
	s_waitcnt lgkmcnt(1)
	v_add_u32_e32 v18, v19, v18
	s_waitcnt lgkmcnt(0)
	v_add3_u32 v18, v18, v20, v21
	v_add_co_u32_e64 v20, s[0:1], s14, v22
	v_addc_co_u32_e64 v21, s[0:1], v24, v23, s[0:1]
	v_mov_b32_e32 v19, v14
	global_atomic_add_x2 v[20:21], v[18:19], off
	s_branch .LBB10_65
.LBB10_68:
	s_mov_b64 s[0:1], 0
.LBB10_69:
	s_and_b64 vcc, exec, s[0:1]
	s_cbranch_vccz .LBB10_74
; %bb.70:
	v_or_b32_e32 v13, 0xfffffe00, v0
	s_mov_b64 s[0:1], 0
	v_mov_b32_e32 v14, 0
	s_movk_i32 s2, 0x1dff
.LBB10_71:                              ; =>This Inner Loop Header: Depth=1
	v_add_u32_e32 v13, 0x200, v13
	v_cmp_lt_u32_e32 vcc, s2, v13
	ds_write_b32 v16, v14
	s_or_b64 s[0:1], vcc, s[0:1]
	v_add_u32_e32 v16, 0x800, v16
	s_andn2_b64 exec, exec, s[0:1]
	s_cbranch_execnz .LBB10_71
; %bb.72:
	s_or_b64 exec, exec, s[0:1]
	s_waitcnt vmcnt(1)
	v_not_b32_e32 v11, v11
	v_and_b32_e32 v13, 3, v0
	v_lshlrev_b32_e32 v14, 4, v11
	v_lshlrev_b32_e32 v13, 2, v13
	s_movk_i32 s0, 0xff0
	v_and_or_b32 v14, v14, s0, v13
	v_mov_b32_e32 v16, 1
	s_waitcnt vmcnt(0) lgkmcnt(0)
	s_barrier
	ds_add_u32 v14, v16
	v_bfe_u32 v14, v11, 8, 8
	v_lshl_or_b32 v14, v14, 4, v13
	ds_add_u32 v14, v16 offset:4096
	v_bfe_u32 v14, v11, 16, 8
	v_not_b32_e32 v12, v12
	v_lshl_or_b32 v14, v14, 4, v13
	ds_add_u32 v14, v16 offset:8192
	v_lshrrev_b32_e32 v14, 24, v11
	v_alignbit_b32 v11, v12, v11, 30
	v_lshl_or_b32 v14, v14, 4, v13
	v_and_b32_e32 v11, 0x3fc, v11
	ds_add_u32 v14, v16 offset:12288
	v_lshl_or_b32 v11, v11, 2, v13
	ds_add_u32 v11, v16 offset:16384
	v_bfe_u32 v11, v12, 8, 8
	v_lshl_or_b32 v11, v11, 4, v13
	ds_add_u32 v11, v16 offset:20480
	v_bfe_u32 v11, v12, 16, 8
	v_lshl_or_b32 v11, v11, 4, v13
	ds_add_u32 v11, v16 offset:24576
	v_lshrrev_b32_e32 v11, 24, v12
	v_not_b32_e32 v7, v7
	v_lshl_or_b32 v11, v11, 4, v13
	ds_add_u32 v11, v16 offset:28672
	v_lshlrev_b32_e32 v11, 4, v7
	v_and_or_b32 v11, v11, s0, v13
	ds_add_u32 v11, v16
	v_bfe_u32 v11, v7, 8, 8
	v_lshl_or_b32 v11, v11, 4, v13
	ds_add_u32 v11, v16 offset:4096
	v_bfe_u32 v11, v7, 16, 8
	v_not_b32_e32 v8, v8
	v_lshl_or_b32 v11, v11, 4, v13
	ds_add_u32 v11, v16 offset:8192
	v_lshrrev_b32_e32 v11, 24, v7
	v_alignbit_b32 v7, v8, v7, 30
	v_lshl_or_b32 v11, v11, 4, v13
	v_and_b32_e32 v7, 0x3fc, v7
	ds_add_u32 v11, v16 offset:12288
	v_lshl_or_b32 v7, v7, 2, v13
	ds_add_u32 v7, v16 offset:16384
	v_bfe_u32 v7, v8, 8, 8
	v_lshl_or_b32 v7, v7, 4, v13
	ds_add_u32 v7, v16 offset:20480
	v_bfe_u32 v7, v8, 16, 8
	v_lshl_or_b32 v7, v7, 4, v13
	ds_add_u32 v7, v16 offset:24576
	v_lshrrev_b32_e32 v7, 24, v8
	v_not_b32_e32 v3, v3
	v_lshl_or_b32 v7, v7, 4, v13
	ds_add_u32 v7, v16 offset:28672
	v_lshlrev_b32_e32 v7, 4, v3
	v_and_or_b32 v7, v7, s0, v13
	;; [unrolled: 27-line block ×4, first 2 shown]
	ds_add_u32 v1, v16
	v_bfe_u32 v1, v5, 8, 8
	v_lshl_or_b32 v1, v1, 4, v13
	ds_add_u32 v1, v16 offset:4096
	v_bfe_u32 v1, v5, 16, 8
	v_lshl_or_b32 v1, v1, 4, v13
	ds_add_u32 v1, v16 offset:8192
	v_lshrrev_b32_e32 v1, 24, v5
	v_not_b32_e32 v6, v6
	v_lshl_or_b32 v1, v1, 4, v13
	ds_add_u32 v1, v16 offset:12288
	v_alignbit_b32 v1, v6, v5, 30
	v_and_b32_e32 v1, 0x3fc, v1
	v_lshl_or_b32 v1, v1, 2, v13
	ds_add_u32 v1, v16 offset:16384
	v_bfe_u32 v1, v6, 8, 8
	v_lshl_or_b32 v1, v1, 4, v13
	ds_add_u32 v1, v16 offset:20480
	v_bfe_u32 v1, v6, 16, 8
	v_lshl_or_b32 v1, v1, 4, v13
	ds_add_u32 v1, v16 offset:24576
	v_lshrrev_b32_e32 v1, 24, v6
	v_not_b32_e32 v9, v9
	v_lshl_or_b32 v1, v1, 4, v13
	ds_add_u32 v1, v16 offset:28672
	v_lshlrev_b32_e32 v1, 4, v9
	v_and_or_b32 v1, v1, s0, v13
	ds_add_u32 v1, v16
	v_bfe_u32 v1, v9, 8, 8
	v_lshl_or_b32 v1, v1, 4, v13
	ds_add_u32 v1, v16 offset:4096
	v_bfe_u32 v1, v9, 16, 8
	v_lshl_or_b32 v1, v1, 4, v13
	ds_add_u32 v1, v16 offset:8192
	v_lshrrev_b32_e32 v1, 24, v9
	v_not_b32_e32 v10, v10
	v_lshl_or_b32 v1, v1, 4, v13
	ds_add_u32 v1, v16 offset:12288
	v_alignbit_b32 v1, v10, v9, 30
	v_and_b32_e32 v1, 0x3fc, v1
	v_lshl_or_b32 v1, v1, 2, v13
	ds_add_u32 v1, v16 offset:16384
	v_bfe_u32 v1, v10, 8, 8
	v_lshl_or_b32 v1, v1, 4, v13
	ds_add_u32 v1, v16 offset:20480
	v_bfe_u32 v1, v10, 16, 8
	v_lshl_or_b32 v1, v1, 4, v13
	ds_add_u32 v1, v16 offset:24576
	v_lshrrev_b32_e32 v1, 24, v10
	v_lshl_or_b32 v1, v1, 4, v13
	ds_add_u32 v1, v16 offset:28672
	s_movk_i32 s0, 0x100
	v_cmp_gt_u32_e32 vcc, s0, v0
	s_waitcnt lgkmcnt(0)
	s_barrier
	s_and_saveexec_b64 s[0:1], vcc
	s_cbranch_execz .LBB10_74
; %bb.73:
	v_lshlrev_b32_e32 v9, 4, v0
	ds_read2_b32 v[0:1], v9 offset1:1
	ds_read2_b32 v[2:3], v9 offset0:2 offset1:3
	v_mov_b32_e32 v4, 0
	v_add_u32_e32 v5, 0x1000, v9
	v_add_u32_e32 v6, 0x1008, v9
	s_waitcnt lgkmcnt(1)
	v_add_u32_e32 v0, v1, v0
	s_waitcnt lgkmcnt(0)
	v_add3_u32 v3, v0, v2, v3
	global_atomic_add_x2 v15, v[3:4], s[14:15]
	ds_read2_b32 v[0:1], v5 offset1:1
	ds_read2_b32 v[2:3], v6 offset1:1
	v_or_b32_e32 v6, 0x2000, v9
	v_or_b32_e32 v7, 0x2008, v9
	v_mov_b32_e32 v5, s15
	s_waitcnt lgkmcnt(1)
	v_add_u32_e32 v0, v1, v0
	s_waitcnt lgkmcnt(0)
	v_add3_u32 v3, v0, v2, v3
	global_atomic_add_x2 v15, v[3:4], s[14:15] offset:2048
	ds_read2_b32 v[0:1], v6 offset1:1
	ds_read2_b32 v[2:3], v7 offset1:1
	v_add_co_u32_e32 v10, vcc, s14, v15
	v_addc_co_u32_e32 v11, vcc, 0, v5, vcc
	s_movk_i32 s1, 0x2000
	s_waitcnt lgkmcnt(1)
	v_add_u32_e32 v0, v1, v0
	s_waitcnt lgkmcnt(0)
	v_add3_u32 v3, v0, v2, v3
	v_add_co_u32_e32 v0, vcc, s1, v10
	v_addc_co_u32_e32 v1, vcc, 0, v11, vcc
	global_atomic_add_x2 v[0:1], v[3:4], off offset:-4096
	v_add_u32_e32 v2, 0x3000, v9
	v_add_u32_e32 v5, 0x3008, v9
	ds_read2_b32 v[2:3], v2 offset1:1
	ds_read2_b32 v[5:6], v5 offset1:1
	s_movk_i32 s0, 0x1000
	v_add_co_u32_e32 v7, vcc, s0, v10
	s_waitcnt lgkmcnt(1)
	v_add_u32_e32 v2, v3, v2
	v_addc_co_u32_e32 v8, vcc, 0, v11, vcc
	s_waitcnt lgkmcnt(0)
	v_add3_u32 v3, v2, v5, v6
	global_atomic_add_x2 v[7:8], v[3:4], off offset:2048
	v_or_b32_e32 v2, 0x4000, v9
	v_or_b32_e32 v5, 0x4008, v9
	ds_read2_b32 v[2:3], v2 offset1:1
	ds_read2_b32 v[5:6], v5 offset1:1
	s_movk_i32 s0, 0x3000
	s_waitcnt lgkmcnt(1)
	v_add_u32_e32 v2, v3, v2
	s_waitcnt lgkmcnt(0)
	v_add3_u32 v3, v2, v5, v6
	global_atomic_add_x2 v[0:1], v[3:4], off
	v_add_u32_e32 v2, 0x5000, v9
	v_add_u32_e32 v5, 0x5008, v9
	ds_read2_b32 v[2:3], v2 offset1:1
	ds_read2_b32 v[5:6], v5 offset1:1
	s_waitcnt lgkmcnt(1)
	v_add_u32_e32 v2, v3, v2
	s_waitcnt lgkmcnt(0)
	v_add3_u32 v3, v2, v5, v6
	global_atomic_add_x2 v[0:1], v[3:4], off offset:2048
	v_or_b32_e32 v0, 0x6000, v9
	v_or_b32_e32 v2, 0x6008, v9
	ds_read2_b32 v[0:1], v0 offset1:1
	ds_read2_b32 v[2:3], v2 offset1:1
	v_add_u32_e32 v5, 0x7008, v9
	s_waitcnt lgkmcnt(1)
	v_add_u32_e32 v0, v1, v0
	s_waitcnt lgkmcnt(0)
	v_add3_u32 v3, v0, v2, v3
	v_add_co_u32_e32 v0, vcc, s0, v10
	v_addc_co_u32_e32 v1, vcc, 0, v11, vcc
	global_atomic_add_x2 v[0:1], v[3:4], off
	v_add_u32_e32 v2, 0x7000, v9
	ds_read2_b32 v[2:3], v2 offset1:1
	ds_read2_b32 v[5:6], v5 offset1:1
	s_waitcnt lgkmcnt(1)
	v_add_u32_e32 v2, v3, v2
	s_waitcnt lgkmcnt(0)
	v_add3_u32 v3, v2, v5, v6
	global_atomic_add_x2 v[0:1], v[3:4], off offset:2048
.LBB10_74:
	s_endpgm
	.section	.rodata,"a",@progbits
	.p2align	6, 0x0
	.amdhsa_kernel _ZN7rocprim17ROCPRIM_304000_NS6detail26onesweep_histograms_kernelINS1_34wrapped_radix_sort_onesweep_configINS0_14default_configEmN2at4cuda3cub6detail10OpaqueTypeILi8EEEEELb1EPKmmNS0_19identity_decomposerEEEvT1_PT2_SG_SG_T3_jj
		.amdhsa_group_segment_fixed_size 32768
		.amdhsa_private_segment_fixed_size 0
		.amdhsa_kernarg_size 44
		.amdhsa_user_sgpr_count 6
		.amdhsa_user_sgpr_private_segment_buffer 1
		.amdhsa_user_sgpr_dispatch_ptr 0
		.amdhsa_user_sgpr_queue_ptr 0
		.amdhsa_user_sgpr_kernarg_segment_ptr 1
		.amdhsa_user_sgpr_dispatch_id 0
		.amdhsa_user_sgpr_flat_scratch_init 0
		.amdhsa_user_sgpr_private_segment_size 0
		.amdhsa_uses_dynamic_stack 0
		.amdhsa_system_sgpr_private_segment_wavefront_offset 0
		.amdhsa_system_sgpr_workgroup_id_x 1
		.amdhsa_system_sgpr_workgroup_id_y 0
		.amdhsa_system_sgpr_workgroup_id_z 0
		.amdhsa_system_sgpr_workgroup_info 0
		.amdhsa_system_vgpr_workitem_id 0
		.amdhsa_next_free_vgpr 49
		.amdhsa_next_free_sgpr 98
		.amdhsa_reserve_vcc 1
		.amdhsa_reserve_flat_scratch 0
		.amdhsa_float_round_mode_32 0
		.amdhsa_float_round_mode_16_64 0
		.amdhsa_float_denorm_mode_32 3
		.amdhsa_float_denorm_mode_16_64 3
		.amdhsa_dx10_clamp 1
		.amdhsa_ieee_mode 1
		.amdhsa_fp16_overflow 0
		.amdhsa_exception_fp_ieee_invalid_op 0
		.amdhsa_exception_fp_denorm_src 0
		.amdhsa_exception_fp_ieee_div_zero 0
		.amdhsa_exception_fp_ieee_overflow 0
		.amdhsa_exception_fp_ieee_underflow 0
		.amdhsa_exception_fp_ieee_inexact 0
		.amdhsa_exception_int_div_zero 0
	.end_amdhsa_kernel
	.section	.text._ZN7rocprim17ROCPRIM_304000_NS6detail26onesweep_histograms_kernelINS1_34wrapped_radix_sort_onesweep_configINS0_14default_configEmN2at4cuda3cub6detail10OpaqueTypeILi8EEEEELb1EPKmmNS0_19identity_decomposerEEEvT1_PT2_SG_SG_T3_jj,"axG",@progbits,_ZN7rocprim17ROCPRIM_304000_NS6detail26onesweep_histograms_kernelINS1_34wrapped_radix_sort_onesweep_configINS0_14default_configEmN2at4cuda3cub6detail10OpaqueTypeILi8EEEEELb1EPKmmNS0_19identity_decomposerEEEvT1_PT2_SG_SG_T3_jj,comdat
.Lfunc_end10:
	.size	_ZN7rocprim17ROCPRIM_304000_NS6detail26onesweep_histograms_kernelINS1_34wrapped_radix_sort_onesweep_configINS0_14default_configEmN2at4cuda3cub6detail10OpaqueTypeILi8EEEEELb1EPKmmNS0_19identity_decomposerEEEvT1_PT2_SG_SG_T3_jj, .Lfunc_end10-_ZN7rocprim17ROCPRIM_304000_NS6detail26onesweep_histograms_kernelINS1_34wrapped_radix_sort_onesweep_configINS0_14default_configEmN2at4cuda3cub6detail10OpaqueTypeILi8EEEEELb1EPKmmNS0_19identity_decomposerEEEvT1_PT2_SG_SG_T3_jj
                                        ; -- End function
	.set _ZN7rocprim17ROCPRIM_304000_NS6detail26onesweep_histograms_kernelINS1_34wrapped_radix_sort_onesweep_configINS0_14default_configEmN2at4cuda3cub6detail10OpaqueTypeILi8EEEEELb1EPKmmNS0_19identity_decomposerEEEvT1_PT2_SG_SG_T3_jj.num_vgpr, 25
	.set _ZN7rocprim17ROCPRIM_304000_NS6detail26onesweep_histograms_kernelINS1_34wrapped_radix_sort_onesweep_configINS0_14default_configEmN2at4cuda3cub6detail10OpaqueTypeILi8EEEEELb1EPKmmNS0_19identity_decomposerEEEvT1_PT2_SG_SG_T3_jj.num_agpr, 0
	.set _ZN7rocprim17ROCPRIM_304000_NS6detail26onesweep_histograms_kernelINS1_34wrapped_radix_sort_onesweep_configINS0_14default_configEmN2at4cuda3cub6detail10OpaqueTypeILi8EEEEELb1EPKmmNS0_19identity_decomposerEEEvT1_PT2_SG_SG_T3_jj.numbered_sgpr, 26
	.set _ZN7rocprim17ROCPRIM_304000_NS6detail26onesweep_histograms_kernelINS1_34wrapped_radix_sort_onesweep_configINS0_14default_configEmN2at4cuda3cub6detail10OpaqueTypeILi8EEEEELb1EPKmmNS0_19identity_decomposerEEEvT1_PT2_SG_SG_T3_jj.num_named_barrier, 0
	.set _ZN7rocprim17ROCPRIM_304000_NS6detail26onesweep_histograms_kernelINS1_34wrapped_radix_sort_onesweep_configINS0_14default_configEmN2at4cuda3cub6detail10OpaqueTypeILi8EEEEELb1EPKmmNS0_19identity_decomposerEEEvT1_PT2_SG_SG_T3_jj.private_seg_size, 0
	.set _ZN7rocprim17ROCPRIM_304000_NS6detail26onesweep_histograms_kernelINS1_34wrapped_radix_sort_onesweep_configINS0_14default_configEmN2at4cuda3cub6detail10OpaqueTypeILi8EEEEELb1EPKmmNS0_19identity_decomposerEEEvT1_PT2_SG_SG_T3_jj.uses_vcc, 1
	.set _ZN7rocprim17ROCPRIM_304000_NS6detail26onesweep_histograms_kernelINS1_34wrapped_radix_sort_onesweep_configINS0_14default_configEmN2at4cuda3cub6detail10OpaqueTypeILi8EEEEELb1EPKmmNS0_19identity_decomposerEEEvT1_PT2_SG_SG_T3_jj.uses_flat_scratch, 0
	.set _ZN7rocprim17ROCPRIM_304000_NS6detail26onesweep_histograms_kernelINS1_34wrapped_radix_sort_onesweep_configINS0_14default_configEmN2at4cuda3cub6detail10OpaqueTypeILi8EEEEELb1EPKmmNS0_19identity_decomposerEEEvT1_PT2_SG_SG_T3_jj.has_dyn_sized_stack, 0
	.set _ZN7rocprim17ROCPRIM_304000_NS6detail26onesweep_histograms_kernelINS1_34wrapped_radix_sort_onesweep_configINS0_14default_configEmN2at4cuda3cub6detail10OpaqueTypeILi8EEEEELb1EPKmmNS0_19identity_decomposerEEEvT1_PT2_SG_SG_T3_jj.has_recursion, 0
	.set _ZN7rocprim17ROCPRIM_304000_NS6detail26onesweep_histograms_kernelINS1_34wrapped_radix_sort_onesweep_configINS0_14default_configEmN2at4cuda3cub6detail10OpaqueTypeILi8EEEEELb1EPKmmNS0_19identity_decomposerEEEvT1_PT2_SG_SG_T3_jj.has_indirect_call, 0
	.section	.AMDGPU.csdata,"",@progbits
; Kernel info:
; codeLenInByte = 4020
; TotalNumSgprs: 30
; NumVgprs: 25
; ScratchSize: 0
; MemoryBound: 1
; FloatMode: 240
; IeeeMode: 1
; LDSByteSize: 32768 bytes/workgroup (compile time only)
; SGPRBlocks: 12
; VGPRBlocks: 12
; NumSGPRsForWavesPerEU: 102
; NumVGPRsForWavesPerEU: 49
; Occupancy: 4
; WaveLimiterHint : 1
; COMPUTE_PGM_RSRC2:SCRATCH_EN: 0
; COMPUTE_PGM_RSRC2:USER_SGPR: 6
; COMPUTE_PGM_RSRC2:TRAP_HANDLER: 0
; COMPUTE_PGM_RSRC2:TGID_X_EN: 1
; COMPUTE_PGM_RSRC2:TGID_Y_EN: 0
; COMPUTE_PGM_RSRC2:TGID_Z_EN: 0
; COMPUTE_PGM_RSRC2:TIDIG_COMP_CNT: 0
	.section	.text._ZN7rocprim17ROCPRIM_304000_NS6detail31onesweep_scan_histograms_kernelINS1_34wrapped_radix_sort_onesweep_configINS0_14default_configEmN2at4cuda3cub6detail10OpaqueTypeILi8EEEEEmEEvPT0_,"axG",@progbits,_ZN7rocprim17ROCPRIM_304000_NS6detail31onesweep_scan_histograms_kernelINS1_34wrapped_radix_sort_onesweep_configINS0_14default_configEmN2at4cuda3cub6detail10OpaqueTypeILi8EEEEEmEEvPT0_,comdat
	.protected	_ZN7rocprim17ROCPRIM_304000_NS6detail31onesweep_scan_histograms_kernelINS1_34wrapped_radix_sort_onesweep_configINS0_14default_configEmN2at4cuda3cub6detail10OpaqueTypeILi8EEEEEmEEvPT0_ ; -- Begin function _ZN7rocprim17ROCPRIM_304000_NS6detail31onesweep_scan_histograms_kernelINS1_34wrapped_radix_sort_onesweep_configINS0_14default_configEmN2at4cuda3cub6detail10OpaqueTypeILi8EEEEEmEEvPT0_
	.globl	_ZN7rocprim17ROCPRIM_304000_NS6detail31onesweep_scan_histograms_kernelINS1_34wrapped_radix_sort_onesweep_configINS0_14default_configEmN2at4cuda3cub6detail10OpaqueTypeILi8EEEEEmEEvPT0_
	.p2align	8
	.type	_ZN7rocprim17ROCPRIM_304000_NS6detail31onesweep_scan_histograms_kernelINS1_34wrapped_radix_sort_onesweep_configINS0_14default_configEmN2at4cuda3cub6detail10OpaqueTypeILi8EEEEEmEEvPT0_,@function
_ZN7rocprim17ROCPRIM_304000_NS6detail31onesweep_scan_histograms_kernelINS1_34wrapped_radix_sort_onesweep_configINS0_14default_configEmN2at4cuda3cub6detail10OpaqueTypeILi8EEEEEmEEvPT0_: ; @_ZN7rocprim17ROCPRIM_304000_NS6detail31onesweep_scan_histograms_kernelINS1_34wrapped_radix_sort_onesweep_configINS0_14default_configEmN2at4cuda3cub6detail10OpaqueTypeILi8EEEEEmEEvPT0_
; %bb.0:
	s_load_dwordx2 s[0:1], s[4:5], 0x0
	s_lshl_b32 s2, s6, 8
	s_mov_b32 s3, 0
	s_lshl_b64 s[2:3], s[2:3], 3
	v_lshlrev_b32_e32 v5, 3, v0
	s_waitcnt lgkmcnt(0)
	s_add_u32 s2, s0, s2
	s_movk_i32 s0, 0x100
	s_addc_u32 s3, s1, s3
	v_cmp_gt_u32_e32 vcc, s0, v0
                                        ; implicit-def: $vgpr1_vgpr2
	s_and_saveexec_b64 s[0:1], vcc
	s_cbranch_execz .LBB11_2
; %bb.1:
	global_load_dwordx2 v[1:2], v5, s[2:3]
.LBB11_2:
	s_or_b64 exec, exec, s[0:1]
	v_mbcnt_lo_u32_b32 v3, -1, 0
	v_mbcnt_hi_u32_b32 v6, -1, v3
	v_and_b32_e32 v4, 15, v6
	s_waitcnt vmcnt(0)
	v_mov_b32_dpp v8, v1 row_shr:1 row_mask:0xf bank_mask:0xf
	v_mov_b32_dpp v7, v2 row_shr:1 row_mask:0xf bank_mask:0xf
	v_cmp_ne_u32_e64 s[0:1], 0, v4
	v_mov_b32_e32 v3, v1
	s_and_saveexec_b64 s[4:5], s[0:1]
; %bb.3:
	v_add_co_u32_e64 v3, s[0:1], v1, v8
	v_addc_co_u32_e64 v2, s[0:1], 0, v2, s[0:1]
	v_add_co_u32_e64 v1, s[0:1], 0, v3
	v_addc_co_u32_e64 v2, s[0:1], v7, v2, s[0:1]
; %bb.4:
	s_or_b64 exec, exec, s[4:5]
	v_mov_b32_dpp v8, v3 row_shr:2 row_mask:0xf bank_mask:0xf
	v_mov_b32_dpp v7, v2 row_shr:2 row_mask:0xf bank_mask:0xf
	v_cmp_lt_u32_e64 s[0:1], 1, v4
	s_and_saveexec_b64 s[4:5], s[0:1]
; %bb.5:
	v_add_co_u32_e64 v3, s[0:1], v1, v8
	v_addc_co_u32_e64 v2, s[0:1], 0, v2, s[0:1]
	v_add_co_u32_e64 v1, s[0:1], 0, v3
	v_addc_co_u32_e64 v2, s[0:1], v7, v2, s[0:1]
; %bb.6:
	s_or_b64 exec, exec, s[4:5]
	v_mov_b32_dpp v8, v3 row_shr:4 row_mask:0xf bank_mask:0xf
	v_mov_b32_dpp v7, v2 row_shr:4 row_mask:0xf bank_mask:0xf
	v_cmp_lt_u32_e64 s[0:1], 3, v4
	;; [unrolled: 11-line block ×3, first 2 shown]
	s_and_saveexec_b64 s[4:5], s[0:1]
; %bb.9:
	v_add_co_u32_e64 v3, s[0:1], v1, v8
	v_addc_co_u32_e64 v2, s[0:1], 0, v2, s[0:1]
	v_add_co_u32_e64 v1, s[0:1], 0, v3
	v_addc_co_u32_e64 v2, s[0:1], v7, v2, s[0:1]
; %bb.10:
	s_or_b64 exec, exec, s[4:5]
	v_and_b32_e32 v8, 16, v6
	v_mov_b32_dpp v7, v3 row_bcast:15 row_mask:0xf bank_mask:0xf
	v_mov_b32_dpp v4, v2 row_bcast:15 row_mask:0xf bank_mask:0xf
	v_cmp_ne_u32_e64 s[0:1], 0, v8
	s_and_saveexec_b64 s[4:5], s[0:1]
; %bb.11:
	v_add_co_u32_e64 v3, s[0:1], v1, v7
	v_addc_co_u32_e64 v2, s[0:1], 0, v2, s[0:1]
	v_add_co_u32_e64 v1, s[0:1], 0, v3
	v_addc_co_u32_e64 v2, s[0:1], v4, v2, s[0:1]
; %bb.12:
	s_or_b64 exec, exec, s[4:5]
	v_mov_b32_dpp v3, v3 row_bcast:31 row_mask:0xf bank_mask:0xf
	v_add_co_u32_e64 v3, s[0:1], v1, v3
	v_addc_co_u32_e64 v7, s[0:1], 0, v2, s[0:1]
	v_mov_b32_dpp v4, v2 row_bcast:31 row_mask:0xf bank_mask:0xf
	v_add_co_u32_e64 v3, s[0:1], 0, v3
	v_addc_co_u32_e64 v4, s[0:1], v7, v4, s[0:1]
	v_cmp_lt_u32_e64 s[0:1], 31, v6
	v_cndmask_b32_e64 v1, v1, v3, s[0:1]
	v_or_b32_e32 v3, 63, v0
	v_cndmask_b32_e64 v2, v2, v4, s[0:1]
	v_lshrrev_b32_e32 v7, 6, v0
	v_cmp_eq_u32_e64 s[0:1], v0, v3
	s_and_saveexec_b64 s[4:5], s[0:1]
; %bb.13:
	v_lshlrev_b32_e32 v3, 3, v7
	ds_write_b64 v3, v[1:2]
; %bb.14:
	s_or_b64 exec, exec, s[4:5]
	v_cmp_gt_u32_e64 s[0:1], 8, v0
	s_waitcnt lgkmcnt(0)
	s_barrier
	s_and_saveexec_b64 s[4:5], s[0:1]
	s_cbranch_execz .LBB11_20
; %bb.15:
	ds_read_b64 v[3:4], v5
	v_and_b32_e32 v8, 7, v6
	v_cmp_ne_u32_e64 s[0:1], 0, v8
	s_waitcnt lgkmcnt(0)
	v_mov_b32_dpp v11, v3 row_shr:1 row_mask:0xf bank_mask:0xf
	v_mov_b32_dpp v10, v4 row_shr:1 row_mask:0xf bank_mask:0xf
	v_mov_b32_e32 v9, v3
	s_and_saveexec_b64 s[6:7], s[0:1]
; %bb.16:
	v_add_co_u32_e64 v9, s[0:1], v3, v11
	v_addc_co_u32_e64 v4, s[0:1], 0, v4, s[0:1]
	v_add_co_u32_e64 v3, s[0:1], 0, v9
	v_addc_co_u32_e64 v4, s[0:1], v10, v4, s[0:1]
; %bb.17:
	s_or_b64 exec, exec, s[6:7]
	v_mov_b32_dpp v11, v9 row_shr:2 row_mask:0xf bank_mask:0xf
	v_mov_b32_dpp v10, v4 row_shr:2 row_mask:0xf bank_mask:0xf
	v_cmp_lt_u32_e64 s[0:1], 1, v8
	s_and_saveexec_b64 s[6:7], s[0:1]
; %bb.18:
	v_add_co_u32_e64 v9, s[0:1], v3, v11
	v_addc_co_u32_e64 v4, s[0:1], 0, v4, s[0:1]
	v_add_co_u32_e64 v3, s[0:1], 0, v9
	v_addc_co_u32_e64 v4, s[0:1], v10, v4, s[0:1]
; %bb.19:
	s_or_b64 exec, exec, s[6:7]
	v_mov_b32_dpp v9, v9 row_shr:4 row_mask:0xf bank_mask:0xf
	v_cmp_lt_u32_e64 s[0:1], 3, v8
	v_mov_b32_dpp v10, v4 row_shr:4 row_mask:0xf bank_mask:0xf
	v_cndmask_b32_e64 v9, 0, v9, s[0:1]
	v_cndmask_b32_e64 v8, 0, v10, s[0:1]
	v_add_co_u32_e64 v3, s[0:1], v9, v3
	v_addc_co_u32_e64 v4, s[0:1], v8, v4, s[0:1]
	ds_write_b64 v5, v[3:4]
.LBB11_20:
	s_or_b64 exec, exec, s[4:5]
	v_mov_b32_e32 v3, 0
	v_mov_b32_e32 v4, 0
	v_cmp_lt_u32_e64 s[0:1], 63, v0
	s_waitcnt lgkmcnt(0)
	s_barrier
	s_and_saveexec_b64 s[4:5], s[0:1]
; %bb.21:
	v_lshl_add_u32 v0, v7, 3, -8
	ds_read_b64 v[3:4], v0
; %bb.22:
	s_or_b64 exec, exec, s[4:5]
	s_waitcnt lgkmcnt(0)
	v_add_co_u32_e64 v0, s[0:1], v3, v1
	v_addc_co_u32_e64 v1, s[0:1], v4, v2, s[0:1]
	v_add_u32_e32 v2, -1, v6
	v_and_b32_e32 v7, 64, v6
	v_cmp_lt_i32_e64 s[0:1], v2, v7
	v_cndmask_b32_e64 v2, v2, v6, s[0:1]
	v_lshlrev_b32_e32 v2, 2, v2
	ds_bpermute_b32 v0, v2, v0
	ds_bpermute_b32 v1, v2, v1
	s_and_saveexec_b64 s[0:1], vcc
	s_cbranch_execz .LBB11_24
; %bb.23:
	v_cmp_eq_u32_e32 vcc, 0, v6
	s_waitcnt lgkmcnt(0)
	v_cndmask_b32_e32 v1, v1, v4, vcc
	v_cndmask_b32_e32 v0, v0, v3, vcc
	global_store_dwordx2 v5, v[0:1], s[2:3]
.LBB11_24:
	s_endpgm
	.section	.rodata,"a",@progbits
	.p2align	6, 0x0
	.amdhsa_kernel _ZN7rocprim17ROCPRIM_304000_NS6detail31onesweep_scan_histograms_kernelINS1_34wrapped_radix_sort_onesweep_configINS0_14default_configEmN2at4cuda3cub6detail10OpaqueTypeILi8EEEEEmEEvPT0_
		.amdhsa_group_segment_fixed_size 64
		.amdhsa_private_segment_fixed_size 0
		.amdhsa_kernarg_size 8
		.amdhsa_user_sgpr_count 6
		.amdhsa_user_sgpr_private_segment_buffer 1
		.amdhsa_user_sgpr_dispatch_ptr 0
		.amdhsa_user_sgpr_queue_ptr 0
		.amdhsa_user_sgpr_kernarg_segment_ptr 1
		.amdhsa_user_sgpr_dispatch_id 0
		.amdhsa_user_sgpr_flat_scratch_init 0
		.amdhsa_user_sgpr_private_segment_size 0
		.amdhsa_uses_dynamic_stack 0
		.amdhsa_system_sgpr_private_segment_wavefront_offset 0
		.amdhsa_system_sgpr_workgroup_id_x 1
		.amdhsa_system_sgpr_workgroup_id_y 0
		.amdhsa_system_sgpr_workgroup_id_z 0
		.amdhsa_system_sgpr_workgroup_info 0
		.amdhsa_system_vgpr_workitem_id 0
		.amdhsa_next_free_vgpr 12
		.amdhsa_next_free_sgpr 8
		.amdhsa_reserve_vcc 1
		.amdhsa_reserve_flat_scratch 0
		.amdhsa_float_round_mode_32 0
		.amdhsa_float_round_mode_16_64 0
		.amdhsa_float_denorm_mode_32 3
		.amdhsa_float_denorm_mode_16_64 3
		.amdhsa_dx10_clamp 1
		.amdhsa_ieee_mode 1
		.amdhsa_fp16_overflow 0
		.amdhsa_exception_fp_ieee_invalid_op 0
		.amdhsa_exception_fp_denorm_src 0
		.amdhsa_exception_fp_ieee_div_zero 0
		.amdhsa_exception_fp_ieee_overflow 0
		.amdhsa_exception_fp_ieee_underflow 0
		.amdhsa_exception_fp_ieee_inexact 0
		.amdhsa_exception_int_div_zero 0
	.end_amdhsa_kernel
	.section	.text._ZN7rocprim17ROCPRIM_304000_NS6detail31onesweep_scan_histograms_kernelINS1_34wrapped_radix_sort_onesweep_configINS0_14default_configEmN2at4cuda3cub6detail10OpaqueTypeILi8EEEEEmEEvPT0_,"axG",@progbits,_ZN7rocprim17ROCPRIM_304000_NS6detail31onesweep_scan_histograms_kernelINS1_34wrapped_radix_sort_onesweep_configINS0_14default_configEmN2at4cuda3cub6detail10OpaqueTypeILi8EEEEEmEEvPT0_,comdat
.Lfunc_end11:
	.size	_ZN7rocprim17ROCPRIM_304000_NS6detail31onesweep_scan_histograms_kernelINS1_34wrapped_radix_sort_onesweep_configINS0_14default_configEmN2at4cuda3cub6detail10OpaqueTypeILi8EEEEEmEEvPT0_, .Lfunc_end11-_ZN7rocprim17ROCPRIM_304000_NS6detail31onesweep_scan_histograms_kernelINS1_34wrapped_radix_sort_onesweep_configINS0_14default_configEmN2at4cuda3cub6detail10OpaqueTypeILi8EEEEEmEEvPT0_
                                        ; -- End function
	.set _ZN7rocprim17ROCPRIM_304000_NS6detail31onesweep_scan_histograms_kernelINS1_34wrapped_radix_sort_onesweep_configINS0_14default_configEmN2at4cuda3cub6detail10OpaqueTypeILi8EEEEEmEEvPT0_.num_vgpr, 12
	.set _ZN7rocprim17ROCPRIM_304000_NS6detail31onesweep_scan_histograms_kernelINS1_34wrapped_radix_sort_onesweep_configINS0_14default_configEmN2at4cuda3cub6detail10OpaqueTypeILi8EEEEEmEEvPT0_.num_agpr, 0
	.set _ZN7rocprim17ROCPRIM_304000_NS6detail31onesweep_scan_histograms_kernelINS1_34wrapped_radix_sort_onesweep_configINS0_14default_configEmN2at4cuda3cub6detail10OpaqueTypeILi8EEEEEmEEvPT0_.numbered_sgpr, 8
	.set _ZN7rocprim17ROCPRIM_304000_NS6detail31onesweep_scan_histograms_kernelINS1_34wrapped_radix_sort_onesweep_configINS0_14default_configEmN2at4cuda3cub6detail10OpaqueTypeILi8EEEEEmEEvPT0_.num_named_barrier, 0
	.set _ZN7rocprim17ROCPRIM_304000_NS6detail31onesweep_scan_histograms_kernelINS1_34wrapped_radix_sort_onesweep_configINS0_14default_configEmN2at4cuda3cub6detail10OpaqueTypeILi8EEEEEmEEvPT0_.private_seg_size, 0
	.set _ZN7rocprim17ROCPRIM_304000_NS6detail31onesweep_scan_histograms_kernelINS1_34wrapped_radix_sort_onesweep_configINS0_14default_configEmN2at4cuda3cub6detail10OpaqueTypeILi8EEEEEmEEvPT0_.uses_vcc, 1
	.set _ZN7rocprim17ROCPRIM_304000_NS6detail31onesweep_scan_histograms_kernelINS1_34wrapped_radix_sort_onesweep_configINS0_14default_configEmN2at4cuda3cub6detail10OpaqueTypeILi8EEEEEmEEvPT0_.uses_flat_scratch, 0
	.set _ZN7rocprim17ROCPRIM_304000_NS6detail31onesweep_scan_histograms_kernelINS1_34wrapped_radix_sort_onesweep_configINS0_14default_configEmN2at4cuda3cub6detail10OpaqueTypeILi8EEEEEmEEvPT0_.has_dyn_sized_stack, 0
	.set _ZN7rocprim17ROCPRIM_304000_NS6detail31onesweep_scan_histograms_kernelINS1_34wrapped_radix_sort_onesweep_configINS0_14default_configEmN2at4cuda3cub6detail10OpaqueTypeILi8EEEEEmEEvPT0_.has_recursion, 0
	.set _ZN7rocprim17ROCPRIM_304000_NS6detail31onesweep_scan_histograms_kernelINS1_34wrapped_radix_sort_onesweep_configINS0_14default_configEmN2at4cuda3cub6detail10OpaqueTypeILi8EEEEEmEEvPT0_.has_indirect_call, 0
	.section	.AMDGPU.csdata,"",@progbits
; Kernel info:
; codeLenInByte = 912
; TotalNumSgprs: 12
; NumVgprs: 12
; ScratchSize: 0
; MemoryBound: 0
; FloatMode: 240
; IeeeMode: 1
; LDSByteSize: 64 bytes/workgroup (compile time only)
; SGPRBlocks: 1
; VGPRBlocks: 2
; NumSGPRsForWavesPerEU: 12
; NumVGPRsForWavesPerEU: 12
; Occupancy: 10
; WaveLimiterHint : 0
; COMPUTE_PGM_RSRC2:SCRATCH_EN: 0
; COMPUTE_PGM_RSRC2:USER_SGPR: 6
; COMPUTE_PGM_RSRC2:TRAP_HANDLER: 0
; COMPUTE_PGM_RSRC2:TGID_X_EN: 1
; COMPUTE_PGM_RSRC2:TGID_Y_EN: 0
; COMPUTE_PGM_RSRC2:TGID_Z_EN: 0
; COMPUTE_PGM_RSRC2:TIDIG_COMP_CNT: 0
	.section	.text._ZN7rocprim17ROCPRIM_304000_NS6detail16transform_kernelINS1_24wrapped_transform_configINS0_14default_configEmEEmPKmPmNS0_8identityImEEEEvT1_mT2_T3_,"axG",@progbits,_ZN7rocprim17ROCPRIM_304000_NS6detail16transform_kernelINS1_24wrapped_transform_configINS0_14default_configEmEEmPKmPmNS0_8identityImEEEEvT1_mT2_T3_,comdat
	.protected	_ZN7rocprim17ROCPRIM_304000_NS6detail16transform_kernelINS1_24wrapped_transform_configINS0_14default_configEmEEmPKmPmNS0_8identityImEEEEvT1_mT2_T3_ ; -- Begin function _ZN7rocprim17ROCPRIM_304000_NS6detail16transform_kernelINS1_24wrapped_transform_configINS0_14default_configEmEEmPKmPmNS0_8identityImEEEEvT1_mT2_T3_
	.globl	_ZN7rocprim17ROCPRIM_304000_NS6detail16transform_kernelINS1_24wrapped_transform_configINS0_14default_configEmEEmPKmPmNS0_8identityImEEEEvT1_mT2_T3_
	.p2align	8
	.type	_ZN7rocprim17ROCPRIM_304000_NS6detail16transform_kernelINS1_24wrapped_transform_configINS0_14default_configEmEEmPKmPmNS0_8identityImEEEEvT1_mT2_T3_,@function
_ZN7rocprim17ROCPRIM_304000_NS6detail16transform_kernelINS1_24wrapped_transform_configINS0_14default_configEmEEmPKmPmNS0_8identityImEEEEvT1_mT2_T3_: ; @_ZN7rocprim17ROCPRIM_304000_NS6detail16transform_kernelINS1_24wrapped_transform_configINS0_14default_configEmEEmPKmPmNS0_8identityImEEEEvT1_mT2_T3_
; %bb.0:
	s_load_dword s7, s[4:5], 0x20
	s_load_dwordx4 s[0:3], s[4:5], 0x0
	s_lshl_b32 s8, s6, 9
	s_waitcnt lgkmcnt(0)
	s_add_i32 s7, s7, -1
	s_cmp_lg_u32 s6, s7
	s_cselect_b64 s[6:7], -1, 0
	s_sub_i32 s2, s2, s8
	v_cmp_gt_u32_e32 vcc, s2, v0
	s_or_b64 s[2:3], vcc, s[6:7]
	s_and_saveexec_b64 s[6:7], s[2:3]
	s_cbranch_execz .LBB12_2
; %bb.1:
	s_load_dwordx2 s[2:3], s[4:5], 0x10
	s_mov_b32 s9, 0
	s_lshl_b64 s[4:5], s[8:9], 3
	v_lshlrev_b32_e32 v2, 3, v0
	s_waitcnt lgkmcnt(0)
	s_add_u32 s2, s2, s4
	s_addc_u32 s3, s3, s5
	s_add_u32 s0, s0, s4
	s_addc_u32 s1, s1, s5
	global_load_dwordx2 v[0:1], v2, s[0:1]
	s_waitcnt vmcnt(0)
	global_store_dwordx2 v2, v[0:1], s[2:3]
.LBB12_2:
	s_endpgm
	.section	.rodata,"a",@progbits
	.p2align	6, 0x0
	.amdhsa_kernel _ZN7rocprim17ROCPRIM_304000_NS6detail16transform_kernelINS1_24wrapped_transform_configINS0_14default_configEmEEmPKmPmNS0_8identityImEEEEvT1_mT2_T3_
		.amdhsa_group_segment_fixed_size 0
		.amdhsa_private_segment_fixed_size 0
		.amdhsa_kernarg_size 288
		.amdhsa_user_sgpr_count 6
		.amdhsa_user_sgpr_private_segment_buffer 1
		.amdhsa_user_sgpr_dispatch_ptr 0
		.amdhsa_user_sgpr_queue_ptr 0
		.amdhsa_user_sgpr_kernarg_segment_ptr 1
		.amdhsa_user_sgpr_dispatch_id 0
		.amdhsa_user_sgpr_flat_scratch_init 0
		.amdhsa_user_sgpr_private_segment_size 0
		.amdhsa_uses_dynamic_stack 0
		.amdhsa_system_sgpr_private_segment_wavefront_offset 0
		.amdhsa_system_sgpr_workgroup_id_x 1
		.amdhsa_system_sgpr_workgroup_id_y 0
		.amdhsa_system_sgpr_workgroup_id_z 0
		.amdhsa_system_sgpr_workgroup_info 0
		.amdhsa_system_vgpr_workitem_id 0
		.amdhsa_next_free_vgpr 3
		.amdhsa_next_free_sgpr 10
		.amdhsa_reserve_vcc 1
		.amdhsa_reserve_flat_scratch 0
		.amdhsa_float_round_mode_32 0
		.amdhsa_float_round_mode_16_64 0
		.amdhsa_float_denorm_mode_32 3
		.amdhsa_float_denorm_mode_16_64 3
		.amdhsa_dx10_clamp 1
		.amdhsa_ieee_mode 1
		.amdhsa_fp16_overflow 0
		.amdhsa_exception_fp_ieee_invalid_op 0
		.amdhsa_exception_fp_denorm_src 0
		.amdhsa_exception_fp_ieee_div_zero 0
		.amdhsa_exception_fp_ieee_overflow 0
		.amdhsa_exception_fp_ieee_underflow 0
		.amdhsa_exception_fp_ieee_inexact 0
		.amdhsa_exception_int_div_zero 0
	.end_amdhsa_kernel
	.section	.text._ZN7rocprim17ROCPRIM_304000_NS6detail16transform_kernelINS1_24wrapped_transform_configINS0_14default_configEmEEmPKmPmNS0_8identityImEEEEvT1_mT2_T3_,"axG",@progbits,_ZN7rocprim17ROCPRIM_304000_NS6detail16transform_kernelINS1_24wrapped_transform_configINS0_14default_configEmEEmPKmPmNS0_8identityImEEEEvT1_mT2_T3_,comdat
.Lfunc_end12:
	.size	_ZN7rocprim17ROCPRIM_304000_NS6detail16transform_kernelINS1_24wrapped_transform_configINS0_14default_configEmEEmPKmPmNS0_8identityImEEEEvT1_mT2_T3_, .Lfunc_end12-_ZN7rocprim17ROCPRIM_304000_NS6detail16transform_kernelINS1_24wrapped_transform_configINS0_14default_configEmEEmPKmPmNS0_8identityImEEEEvT1_mT2_T3_
                                        ; -- End function
	.set _ZN7rocprim17ROCPRIM_304000_NS6detail16transform_kernelINS1_24wrapped_transform_configINS0_14default_configEmEEmPKmPmNS0_8identityImEEEEvT1_mT2_T3_.num_vgpr, 3
	.set _ZN7rocprim17ROCPRIM_304000_NS6detail16transform_kernelINS1_24wrapped_transform_configINS0_14default_configEmEEmPKmPmNS0_8identityImEEEEvT1_mT2_T3_.num_agpr, 0
	.set _ZN7rocprim17ROCPRIM_304000_NS6detail16transform_kernelINS1_24wrapped_transform_configINS0_14default_configEmEEmPKmPmNS0_8identityImEEEEvT1_mT2_T3_.numbered_sgpr, 10
	.set _ZN7rocprim17ROCPRIM_304000_NS6detail16transform_kernelINS1_24wrapped_transform_configINS0_14default_configEmEEmPKmPmNS0_8identityImEEEEvT1_mT2_T3_.num_named_barrier, 0
	.set _ZN7rocprim17ROCPRIM_304000_NS6detail16transform_kernelINS1_24wrapped_transform_configINS0_14default_configEmEEmPKmPmNS0_8identityImEEEEvT1_mT2_T3_.private_seg_size, 0
	.set _ZN7rocprim17ROCPRIM_304000_NS6detail16transform_kernelINS1_24wrapped_transform_configINS0_14default_configEmEEmPKmPmNS0_8identityImEEEEvT1_mT2_T3_.uses_vcc, 1
	.set _ZN7rocprim17ROCPRIM_304000_NS6detail16transform_kernelINS1_24wrapped_transform_configINS0_14default_configEmEEmPKmPmNS0_8identityImEEEEvT1_mT2_T3_.uses_flat_scratch, 0
	.set _ZN7rocprim17ROCPRIM_304000_NS6detail16transform_kernelINS1_24wrapped_transform_configINS0_14default_configEmEEmPKmPmNS0_8identityImEEEEvT1_mT2_T3_.has_dyn_sized_stack, 0
	.set _ZN7rocprim17ROCPRIM_304000_NS6detail16transform_kernelINS1_24wrapped_transform_configINS0_14default_configEmEEmPKmPmNS0_8identityImEEEEvT1_mT2_T3_.has_recursion, 0
	.set _ZN7rocprim17ROCPRIM_304000_NS6detail16transform_kernelINS1_24wrapped_transform_configINS0_14default_configEmEEmPKmPmNS0_8identityImEEEEvT1_mT2_T3_.has_indirect_call, 0
	.section	.AMDGPU.csdata,"",@progbits
; Kernel info:
; codeLenInByte = 120
; TotalNumSgprs: 14
; NumVgprs: 3
; ScratchSize: 0
; MemoryBound: 0
; FloatMode: 240
; IeeeMode: 1
; LDSByteSize: 0 bytes/workgroup (compile time only)
; SGPRBlocks: 1
; VGPRBlocks: 0
; NumSGPRsForWavesPerEU: 14
; NumVGPRsForWavesPerEU: 3
; Occupancy: 10
; WaveLimiterHint : 0
; COMPUTE_PGM_RSRC2:SCRATCH_EN: 0
; COMPUTE_PGM_RSRC2:USER_SGPR: 6
; COMPUTE_PGM_RSRC2:TRAP_HANDLER: 0
; COMPUTE_PGM_RSRC2:TGID_X_EN: 1
; COMPUTE_PGM_RSRC2:TGID_Y_EN: 0
; COMPUTE_PGM_RSRC2:TGID_Z_EN: 0
; COMPUTE_PGM_RSRC2:TIDIG_COMP_CNT: 0
	.section	.text._ZN7rocprim17ROCPRIM_304000_NS6detail16transform_kernelINS1_24wrapped_transform_configINS0_14default_configEN2at4cuda3cub6detail10OpaqueTypeILi8EEEEESA_PKSA_PSA_NS0_8identityISA_EEEEvT1_mT2_T3_,"axG",@progbits,_ZN7rocprim17ROCPRIM_304000_NS6detail16transform_kernelINS1_24wrapped_transform_configINS0_14default_configEN2at4cuda3cub6detail10OpaqueTypeILi8EEEEESA_PKSA_PSA_NS0_8identityISA_EEEEvT1_mT2_T3_,comdat
	.protected	_ZN7rocprim17ROCPRIM_304000_NS6detail16transform_kernelINS1_24wrapped_transform_configINS0_14default_configEN2at4cuda3cub6detail10OpaqueTypeILi8EEEEESA_PKSA_PSA_NS0_8identityISA_EEEEvT1_mT2_T3_ ; -- Begin function _ZN7rocprim17ROCPRIM_304000_NS6detail16transform_kernelINS1_24wrapped_transform_configINS0_14default_configEN2at4cuda3cub6detail10OpaqueTypeILi8EEEEESA_PKSA_PSA_NS0_8identityISA_EEEEvT1_mT2_T3_
	.globl	_ZN7rocprim17ROCPRIM_304000_NS6detail16transform_kernelINS1_24wrapped_transform_configINS0_14default_configEN2at4cuda3cub6detail10OpaqueTypeILi8EEEEESA_PKSA_PSA_NS0_8identityISA_EEEEvT1_mT2_T3_
	.p2align	8
	.type	_ZN7rocprim17ROCPRIM_304000_NS6detail16transform_kernelINS1_24wrapped_transform_configINS0_14default_configEN2at4cuda3cub6detail10OpaqueTypeILi8EEEEESA_PKSA_PSA_NS0_8identityISA_EEEEvT1_mT2_T3_,@function
_ZN7rocprim17ROCPRIM_304000_NS6detail16transform_kernelINS1_24wrapped_transform_configINS0_14default_configEN2at4cuda3cub6detail10OpaqueTypeILi8EEEEESA_PKSA_PSA_NS0_8identityISA_EEEEvT1_mT2_T3_: ; @_ZN7rocprim17ROCPRIM_304000_NS6detail16transform_kernelINS1_24wrapped_transform_configINS0_14default_configEN2at4cuda3cub6detail10OpaqueTypeILi8EEEEESA_PKSA_PSA_NS0_8identityISA_EEEEvT1_mT2_T3_
; %bb.0:
	s_load_dword s7, s[4:5], 0x20
	s_load_dwordx4 s[0:3], s[4:5], 0x0
	s_lshl_b32 s8, s6, 9
	s_waitcnt lgkmcnt(0)
	s_add_i32 s7, s7, -1
	s_cmp_lg_u32 s6, s7
	s_cselect_b64 s[6:7], -1, 0
	s_sub_i32 s2, s2, s8
	v_cmp_gt_u32_e32 vcc, s2, v0
	s_or_b64 s[2:3], vcc, s[6:7]
	s_and_saveexec_b64 s[6:7], s[2:3]
	s_cbranch_execz .LBB13_2
; %bb.1:
	s_load_dwordx2 s[2:3], s[4:5], 0x10
	s_mov_b32 s9, 0
	s_lshl_b64 s[4:5], s[8:9], 3
	v_lshlrev_b32_e32 v2, 3, v0
	s_waitcnt lgkmcnt(0)
	s_add_u32 s2, s2, s4
	s_addc_u32 s3, s3, s5
	s_add_u32 s0, s0, s4
	s_addc_u32 s1, s1, s5
	global_load_dwordx2 v[0:1], v2, s[0:1]
	s_waitcnt vmcnt(0)
	global_store_dwordx2 v2, v[0:1], s[2:3]
.LBB13_2:
	s_endpgm
	.section	.rodata,"a",@progbits
	.p2align	6, 0x0
	.amdhsa_kernel _ZN7rocprim17ROCPRIM_304000_NS6detail16transform_kernelINS1_24wrapped_transform_configINS0_14default_configEN2at4cuda3cub6detail10OpaqueTypeILi8EEEEESA_PKSA_PSA_NS0_8identityISA_EEEEvT1_mT2_T3_
		.amdhsa_group_segment_fixed_size 0
		.amdhsa_private_segment_fixed_size 0
		.amdhsa_kernarg_size 288
		.amdhsa_user_sgpr_count 6
		.amdhsa_user_sgpr_private_segment_buffer 1
		.amdhsa_user_sgpr_dispatch_ptr 0
		.amdhsa_user_sgpr_queue_ptr 0
		.amdhsa_user_sgpr_kernarg_segment_ptr 1
		.amdhsa_user_sgpr_dispatch_id 0
		.amdhsa_user_sgpr_flat_scratch_init 0
		.amdhsa_user_sgpr_private_segment_size 0
		.amdhsa_uses_dynamic_stack 0
		.amdhsa_system_sgpr_private_segment_wavefront_offset 0
		.amdhsa_system_sgpr_workgroup_id_x 1
		.amdhsa_system_sgpr_workgroup_id_y 0
		.amdhsa_system_sgpr_workgroup_id_z 0
		.amdhsa_system_sgpr_workgroup_info 0
		.amdhsa_system_vgpr_workitem_id 0
		.amdhsa_next_free_vgpr 3
		.amdhsa_next_free_sgpr 10
		.amdhsa_reserve_vcc 1
		.amdhsa_reserve_flat_scratch 0
		.amdhsa_float_round_mode_32 0
		.amdhsa_float_round_mode_16_64 0
		.amdhsa_float_denorm_mode_32 3
		.amdhsa_float_denorm_mode_16_64 3
		.amdhsa_dx10_clamp 1
		.amdhsa_ieee_mode 1
		.amdhsa_fp16_overflow 0
		.amdhsa_exception_fp_ieee_invalid_op 0
		.amdhsa_exception_fp_denorm_src 0
		.amdhsa_exception_fp_ieee_div_zero 0
		.amdhsa_exception_fp_ieee_overflow 0
		.amdhsa_exception_fp_ieee_underflow 0
		.amdhsa_exception_fp_ieee_inexact 0
		.amdhsa_exception_int_div_zero 0
	.end_amdhsa_kernel
	.section	.text._ZN7rocprim17ROCPRIM_304000_NS6detail16transform_kernelINS1_24wrapped_transform_configINS0_14default_configEN2at4cuda3cub6detail10OpaqueTypeILi8EEEEESA_PKSA_PSA_NS0_8identityISA_EEEEvT1_mT2_T3_,"axG",@progbits,_ZN7rocprim17ROCPRIM_304000_NS6detail16transform_kernelINS1_24wrapped_transform_configINS0_14default_configEN2at4cuda3cub6detail10OpaqueTypeILi8EEEEESA_PKSA_PSA_NS0_8identityISA_EEEEvT1_mT2_T3_,comdat
.Lfunc_end13:
	.size	_ZN7rocprim17ROCPRIM_304000_NS6detail16transform_kernelINS1_24wrapped_transform_configINS0_14default_configEN2at4cuda3cub6detail10OpaqueTypeILi8EEEEESA_PKSA_PSA_NS0_8identityISA_EEEEvT1_mT2_T3_, .Lfunc_end13-_ZN7rocprim17ROCPRIM_304000_NS6detail16transform_kernelINS1_24wrapped_transform_configINS0_14default_configEN2at4cuda3cub6detail10OpaqueTypeILi8EEEEESA_PKSA_PSA_NS0_8identityISA_EEEEvT1_mT2_T3_
                                        ; -- End function
	.set _ZN7rocprim17ROCPRIM_304000_NS6detail16transform_kernelINS1_24wrapped_transform_configINS0_14default_configEN2at4cuda3cub6detail10OpaqueTypeILi8EEEEESA_PKSA_PSA_NS0_8identityISA_EEEEvT1_mT2_T3_.num_vgpr, 3
	.set _ZN7rocprim17ROCPRIM_304000_NS6detail16transform_kernelINS1_24wrapped_transform_configINS0_14default_configEN2at4cuda3cub6detail10OpaqueTypeILi8EEEEESA_PKSA_PSA_NS0_8identityISA_EEEEvT1_mT2_T3_.num_agpr, 0
	.set _ZN7rocprim17ROCPRIM_304000_NS6detail16transform_kernelINS1_24wrapped_transform_configINS0_14default_configEN2at4cuda3cub6detail10OpaqueTypeILi8EEEEESA_PKSA_PSA_NS0_8identityISA_EEEEvT1_mT2_T3_.numbered_sgpr, 10
	.set _ZN7rocprim17ROCPRIM_304000_NS6detail16transform_kernelINS1_24wrapped_transform_configINS0_14default_configEN2at4cuda3cub6detail10OpaqueTypeILi8EEEEESA_PKSA_PSA_NS0_8identityISA_EEEEvT1_mT2_T3_.num_named_barrier, 0
	.set _ZN7rocprim17ROCPRIM_304000_NS6detail16transform_kernelINS1_24wrapped_transform_configINS0_14default_configEN2at4cuda3cub6detail10OpaqueTypeILi8EEEEESA_PKSA_PSA_NS0_8identityISA_EEEEvT1_mT2_T3_.private_seg_size, 0
	.set _ZN7rocprim17ROCPRIM_304000_NS6detail16transform_kernelINS1_24wrapped_transform_configINS0_14default_configEN2at4cuda3cub6detail10OpaqueTypeILi8EEEEESA_PKSA_PSA_NS0_8identityISA_EEEEvT1_mT2_T3_.uses_vcc, 1
	.set _ZN7rocprim17ROCPRIM_304000_NS6detail16transform_kernelINS1_24wrapped_transform_configINS0_14default_configEN2at4cuda3cub6detail10OpaqueTypeILi8EEEEESA_PKSA_PSA_NS0_8identityISA_EEEEvT1_mT2_T3_.uses_flat_scratch, 0
	.set _ZN7rocprim17ROCPRIM_304000_NS6detail16transform_kernelINS1_24wrapped_transform_configINS0_14default_configEN2at4cuda3cub6detail10OpaqueTypeILi8EEEEESA_PKSA_PSA_NS0_8identityISA_EEEEvT1_mT2_T3_.has_dyn_sized_stack, 0
	.set _ZN7rocprim17ROCPRIM_304000_NS6detail16transform_kernelINS1_24wrapped_transform_configINS0_14default_configEN2at4cuda3cub6detail10OpaqueTypeILi8EEEEESA_PKSA_PSA_NS0_8identityISA_EEEEvT1_mT2_T3_.has_recursion, 0
	.set _ZN7rocprim17ROCPRIM_304000_NS6detail16transform_kernelINS1_24wrapped_transform_configINS0_14default_configEN2at4cuda3cub6detail10OpaqueTypeILi8EEEEESA_PKSA_PSA_NS0_8identityISA_EEEEvT1_mT2_T3_.has_indirect_call, 0
	.section	.AMDGPU.csdata,"",@progbits
; Kernel info:
; codeLenInByte = 120
; TotalNumSgprs: 14
; NumVgprs: 3
; ScratchSize: 0
; MemoryBound: 0
; FloatMode: 240
; IeeeMode: 1
; LDSByteSize: 0 bytes/workgroup (compile time only)
; SGPRBlocks: 1
; VGPRBlocks: 0
; NumSGPRsForWavesPerEU: 14
; NumVGPRsForWavesPerEU: 3
; Occupancy: 10
; WaveLimiterHint : 0
; COMPUTE_PGM_RSRC2:SCRATCH_EN: 0
; COMPUTE_PGM_RSRC2:USER_SGPR: 6
; COMPUTE_PGM_RSRC2:TRAP_HANDLER: 0
; COMPUTE_PGM_RSRC2:TGID_X_EN: 1
; COMPUTE_PGM_RSRC2:TGID_Y_EN: 0
; COMPUTE_PGM_RSRC2:TGID_Z_EN: 0
; COMPUTE_PGM_RSRC2:TIDIG_COMP_CNT: 0
	.section	.text._ZN7rocprim17ROCPRIM_304000_NS6detail25onesweep_iteration_kernelINS1_34wrapped_radix_sort_onesweep_configINS0_14default_configEmN2at4cuda3cub6detail10OpaqueTypeILi8EEEEELb1EPKmPmPKSA_PSA_mNS0_19identity_decomposerEEEvT1_T2_T3_T4_jPT5_SO_PNS1_23onesweep_lookback_stateET6_jjj,"axG",@progbits,_ZN7rocprim17ROCPRIM_304000_NS6detail25onesweep_iteration_kernelINS1_34wrapped_radix_sort_onesweep_configINS0_14default_configEmN2at4cuda3cub6detail10OpaqueTypeILi8EEEEELb1EPKmPmPKSA_PSA_mNS0_19identity_decomposerEEEvT1_T2_T3_T4_jPT5_SO_PNS1_23onesweep_lookback_stateET6_jjj,comdat
	.protected	_ZN7rocprim17ROCPRIM_304000_NS6detail25onesweep_iteration_kernelINS1_34wrapped_radix_sort_onesweep_configINS0_14default_configEmN2at4cuda3cub6detail10OpaqueTypeILi8EEEEELb1EPKmPmPKSA_PSA_mNS0_19identity_decomposerEEEvT1_T2_T3_T4_jPT5_SO_PNS1_23onesweep_lookback_stateET6_jjj ; -- Begin function _ZN7rocprim17ROCPRIM_304000_NS6detail25onesweep_iteration_kernelINS1_34wrapped_radix_sort_onesweep_configINS0_14default_configEmN2at4cuda3cub6detail10OpaqueTypeILi8EEEEELb1EPKmPmPKSA_PSA_mNS0_19identity_decomposerEEEvT1_T2_T3_T4_jPT5_SO_PNS1_23onesweep_lookback_stateET6_jjj
	.globl	_ZN7rocprim17ROCPRIM_304000_NS6detail25onesweep_iteration_kernelINS1_34wrapped_radix_sort_onesweep_configINS0_14default_configEmN2at4cuda3cub6detail10OpaqueTypeILi8EEEEELb1EPKmPmPKSA_PSA_mNS0_19identity_decomposerEEEvT1_T2_T3_T4_jPT5_SO_PNS1_23onesweep_lookback_stateET6_jjj
	.p2align	8
	.type	_ZN7rocprim17ROCPRIM_304000_NS6detail25onesweep_iteration_kernelINS1_34wrapped_radix_sort_onesweep_configINS0_14default_configEmN2at4cuda3cub6detail10OpaqueTypeILi8EEEEELb1EPKmPmPKSA_PSA_mNS0_19identity_decomposerEEEvT1_T2_T3_T4_jPT5_SO_PNS1_23onesweep_lookback_stateET6_jjj,@function
_ZN7rocprim17ROCPRIM_304000_NS6detail25onesweep_iteration_kernelINS1_34wrapped_radix_sort_onesweep_configINS0_14default_configEmN2at4cuda3cub6detail10OpaqueTypeILi8EEEEELb1EPKmPmPKSA_PSA_mNS0_19identity_decomposerEEEvT1_T2_T3_T4_jPT5_SO_PNS1_23onesweep_lookback_stateET6_jjj: ; @_ZN7rocprim17ROCPRIM_304000_NS6detail25onesweep_iteration_kernelINS1_34wrapped_radix_sort_onesweep_configINS0_14default_configEmN2at4cuda3cub6detail10OpaqueTypeILi8EEEEELb1EPKmPmPKSA_PSA_mNS0_19identity_decomposerEEEvT1_T2_T3_T4_jPT5_SO_PNS1_23onesweep_lookback_stateET6_jjj
; %bb.0:
	s_load_dwordx4 s[48:51], s[4:5], 0x44
	s_load_dwordx8 s[36:43], s[4:5], 0x0
	s_load_dwordx4 s[44:47], s[4:5], 0x28
	s_load_dwordx2 s[30:31], s[4:5], 0x38
	s_mov_b64 s[0:1], -1
	s_waitcnt lgkmcnt(0)
	s_cmp_ge_u32 s6, s50
	s_mul_i32 s34, s6, 0xc00
	v_mbcnt_lo_u32_b32 v19, -1, 0
	s_cbranch_scc0 .LBB14_96
; %bb.1:
	s_load_dword s0, s[4:5], 0x20
	s_mul_i32 s1, s50, 0xfffff400
	s_mov_b32 s35, 0
	s_lshl_b64 s[50:51], s[34:35], 3
	v_mbcnt_hi_u32_b32 v22, -1, v19
	s_waitcnt lgkmcnt(0)
	s_add_i32 s35, s1, s0
	s_add_u32 s0, s36, s50
	s_addc_u32 s1, s37, s51
	v_and_b32_e32 v23, 0x1c0, v0
	v_lshlrev_b32_e32 v20, 3, v22
	v_mul_u32_u24_e32 v3, 6, v23
	v_mov_b32_e32 v4, s1
	v_add_co_u32_e32 v5, vcc, s0, v20
	v_addc_co_u32_e32 v4, vcc, 0, v4, vcc
	v_lshlrev_b32_e32 v21, 3, v3
	v_add_co_u32_e32 v15, vcc, v5, v21
	v_addc_co_u32_e32 v16, vcc, 0, v4, vcc
	v_or_b32_e32 v17, v22, v3
	v_mov_b32_e32 v3, -1
	v_mov_b32_e32 v5, -1
	;; [unrolled: 1-line block ×4, first 2 shown]
	v_cmp_gt_u32_e32 vcc, s35, v17
	s_and_saveexec_b64 s[0:1], vcc
	s_cbranch_execz .LBB14_3
; %bb.2:
	global_load_dwordx2 v[5:6], v[15:16], off
	s_waitcnt vmcnt(0)
	v_not_b32_e32 v6, v6
	v_not_b32_e32 v5, v5
.LBB14_3:
	s_or_b64 exec, exec, s[0:1]
	v_add_u32_e32 v7, 64, v17
	v_cmp_gt_u32_e64 s[0:1], s35, v7
	s_and_saveexec_b64 s[2:3], s[0:1]
	s_cbranch_execz .LBB14_5
; %bb.4:
	global_load_dwordx2 v[3:4], v[15:16], off offset:512
	s_waitcnt vmcnt(0)
	v_not_b32_e32 v4, v4
	v_not_b32_e32 v3, v3
.LBB14_5:
	s_or_b64 exec, exec, s[2:3]
	v_add_u32_e32 v11, 0x80, v17
	v_mov_b32_e32 v7, -1
	v_mov_b32_e32 v9, -1
	;; [unrolled: 1-line block ×4, first 2 shown]
	v_cmp_gt_u32_e64 s[2:3], s35, v11
	s_and_saveexec_b64 s[8:9], s[2:3]
	s_cbranch_execz .LBB14_7
; %bb.6:
	global_load_dwordx2 v[9:10], v[15:16], off offset:1024
	s_waitcnt vmcnt(0)
	v_not_b32_e32 v10, v10
	v_not_b32_e32 v9, v9
.LBB14_7:
	s_or_b64 exec, exec, s[8:9]
	v_add_u32_e32 v11, 0xc0, v17
	v_cmp_gt_u32_e64 s[26:27], s35, v11
	s_and_saveexec_b64 s[8:9], s[26:27]
	s_cbranch_execz .LBB14_9
; %bb.8:
	global_load_dwordx2 v[7:8], v[15:16], off offset:1536
	s_waitcnt vmcnt(0)
	v_not_b32_e32 v8, v8
	v_not_b32_e32 v7, v7
.LBB14_9:
	s_or_b64 exec, exec, s[8:9]
	v_add_u32_e32 v18, 0x100, v17
	v_mov_b32_e32 v11, -1
	v_mov_b32_e32 v13, -1
	;; [unrolled: 1-line block ×4, first 2 shown]
	v_cmp_gt_u32_e64 s[8:9], s35, v18
	s_and_saveexec_b64 s[10:11], s[8:9]
	s_cbranch_execz .LBB14_11
; %bb.10:
	global_load_dwordx2 v[13:14], v[15:16], off offset:2048
	s_waitcnt vmcnt(0)
	v_not_b32_e32 v14, v14
	v_not_b32_e32 v13, v13
.LBB14_11:
	s_or_b64 exec, exec, s[10:11]
	v_add_u32_e32 v17, 0x140, v17
	v_cmp_gt_u32_e64 s[10:11], s35, v17
	s_and_saveexec_b64 s[12:13], s[10:11]
	s_cbranch_execz .LBB14_13
; %bb.12:
	global_load_dwordx2 v[11:12], v[15:16], off offset:2560
	s_waitcnt vmcnt(0)
	v_not_b32_e32 v12, v12
	v_not_b32_e32 v11, v11
.LBB14_13:
	s_or_b64 exec, exec, s[12:13]
	s_load_dword s12, s[4:5], 0x5c
	s_load_dword s7, s[4:5], 0x50
	s_add_u32 s13, s4, 0x50
	s_addc_u32 s14, s5, 0
	v_mov_b32_e32 v15, 0
	s_waitcnt lgkmcnt(0)
	s_lshr_b32 s15, s12, 16
	s_cmp_lt_u32 s6, s7
	s_cselect_b32 s12, 12, 18
	s_add_u32 s12, s13, s12
	s_addc_u32 s13, s14, 0
	global_load_ushort v18, v15, s[12:13]
	v_lshrrev_b64 v[16:17], s48, v[5:6]
	s_lshl_b32 s12, -1, s49
	s_not_b32 s33, s12
	v_and_b32_e32 v25, s33, v16
	v_and_b32_e32 v26, 1, v25
	v_add_co_u32_e64 v28, s[12:13], -1, v26
	v_lshlrev_b32_e32 v16, 30, v25
	v_addc_co_u32_e64 v29, s[12:13], 0, -1, s[12:13]
	v_mad_u32_u24 v17, v2, s15, v1
	v_cmp_ne_u32_e64 s[12:13], 0, v26
	v_cmp_gt_i64_e64 s[14:15], 0, v[15:16]
	v_not_b32_e32 v26, v16
	v_lshlrev_b32_e32 v16, 29, v25
	v_xor_b32_e32 v29, s13, v29
	v_xor_b32_e32 v28, s12, v28
	v_ashrrev_i32_e32 v26, 31, v26
	v_cmp_gt_i64_e64 s[12:13], 0, v[15:16]
	v_not_b32_e32 v30, v16
	v_lshlrev_b32_e32 v16, 28, v25
	v_and_b32_e32 v29, exec_hi, v29
	v_and_b32_e32 v28, exec_lo, v28
	v_xor_b32_e32 v31, s15, v26
	v_xor_b32_e32 v26, s14, v26
	v_ashrrev_i32_e32 v30, 31, v30
	v_cmp_gt_i64_e64 s[14:15], 0, v[15:16]
	v_not_b32_e32 v32, v16
	v_lshlrev_b32_e32 v16, 27, v25
	v_and_b32_e32 v29, v29, v31
	v_and_b32_e32 v26, v28, v26
	v_xor_b32_e32 v28, s13, v30
	v_xor_b32_e32 v30, s12, v30
	v_ashrrev_i32_e32 v31, 31, v32
	v_cmp_gt_i64_e64 s[12:13], 0, v[15:16]
	v_not_b32_e32 v32, v16
	v_lshlrev_b32_e32 v16, 26, v25
	v_and_b32_e32 v28, v29, v28
	v_and_b32_e32 v26, v26, v30
	v_xor_b32_e32 v29, s15, v31
	v_xor_b32_e32 v30, s14, v31
	v_ashrrev_i32_e32 v31, 31, v32
	v_cmp_gt_i64_e64 s[14:15], 0, v[15:16]
	v_not_b32_e32 v32, v16
	v_lshlrev_b32_e32 v16, 25, v25
	v_and_b32_e32 v28, v28, v29
	v_and_b32_e32 v26, v26, v30
	v_xor_b32_e32 v29, s13, v31
	v_xor_b32_e32 v30, s12, v31
	v_ashrrev_i32_e32 v31, 31, v32
	v_cmp_gt_i64_e64 s[12:13], 0, v[15:16]
	v_not_b32_e32 v32, v16
	v_mul_lo_u32 v27, v25, 36
	v_lshlrev_b32_e32 v16, 24, v25
	v_and_b32_e32 v25, v28, v29
	v_and_b32_e32 v26, v26, v30
	v_xor_b32_e32 v28, s15, v31
	v_xor_b32_e32 v29, s14, v31
	v_ashrrev_i32_e32 v30, 31, v32
	v_and_b32_e32 v25, v25, v28
	v_and_b32_e32 v26, v26, v29
	v_xor_b32_e32 v28, s13, v30
	v_xor_b32_e32 v29, s12, v30
	v_cmp_gt_i64_e64 s[14:15], 0, v[15:16]
	v_not_b32_e32 v16, v16
	v_and_b32_e32 v28, v25, v28
	v_and_b32_e32 v29, v26, v29
	v_ashrrev_i32_e32 v16, 31, v16
	v_xor_b32_e32 v30, s15, v16
	v_xor_b32_e32 v16, s14, v16
	v_and_b32_e32 v16, v29, v16
	v_mul_u32_u24_e32 v24, 20, v0
	ds_write2_b32 v24, v15, v15 offset0:8 offset1:9
	ds_write2_b32 v24, v15, v15 offset0:10 offset1:11
	ds_write_b32 v24, v15 offset:48
	s_waitcnt vmcnt(0) lgkmcnt(0)
	s_barrier
	; wave barrier
	v_mad_u64_u32 v[25:26], s[12:13], v17, v18, v[0:1]
	v_and_b32_e32 v17, v28, v30
	v_cmp_ne_u64_e64 s[12:13], 0, v[16:17]
	v_lshrrev_b32_e32 v18, 6, v25
	v_mbcnt_lo_u32_b32 v25, v16, 0
	v_mbcnt_hi_u32_b32 v25, v17, v25
	v_cmp_eq_u32_e64 s[14:15], 0, v25
	v_lshl_add_u32 v27, v18, 2, v27
	s_and_b64 s[14:15], s[12:13], s[14:15]
	s_and_saveexec_b64 s[12:13], s[14:15]
; %bb.14:
	v_bcnt_u32_b32 v16, v16, 0
	v_bcnt_u32_b32 v16, v17, v16
	ds_write_b32 v27, v16 offset:32
; %bb.15:
	s_or_b64 exec, exec, s[12:13]
	v_lshrrev_b64 v[16:17], s48, v[3:4]
	v_and_b32_e32 v17, s33, v16
	v_mul_lo_u32 v16, v17, 36
	v_and_b32_e32 v29, 1, v17
	; wave barrier
	v_lshl_add_u32 v28, v18, 2, v16
	v_add_co_u32_e64 v16, s[12:13], -1, v29
	v_addc_co_u32_e64 v30, s[12:13], 0, -1, s[12:13]
	v_cmp_ne_u32_e64 s[12:13], 0, v29
	v_xor_b32_e32 v16, s12, v16
	v_xor_b32_e32 v29, s13, v30
	v_and_b32_e32 v30, exec_lo, v16
	v_lshlrev_b32_e32 v16, 30, v17
	v_cmp_gt_i64_e64 s[12:13], 0, v[15:16]
	v_not_b32_e32 v16, v16
	v_ashrrev_i32_e32 v16, 31, v16
	v_xor_b32_e32 v31, s13, v16
	v_xor_b32_e32 v16, s12, v16
	v_and_b32_e32 v30, v30, v16
	v_lshlrev_b32_e32 v16, 29, v17
	v_cmp_gt_i64_e64 s[12:13], 0, v[15:16]
	v_not_b32_e32 v16, v16
	v_and_b32_e32 v29, exec_hi, v29
	v_ashrrev_i32_e32 v16, 31, v16
	v_and_b32_e32 v29, v29, v31
	v_xor_b32_e32 v31, s13, v16
	v_xor_b32_e32 v16, s12, v16
	v_and_b32_e32 v30, v30, v16
	v_lshlrev_b32_e32 v16, 28, v17
	v_cmp_gt_i64_e64 s[12:13], 0, v[15:16]
	v_not_b32_e32 v16, v16
	v_ashrrev_i32_e32 v16, 31, v16
	v_and_b32_e32 v29, v29, v31
	v_xor_b32_e32 v31, s13, v16
	v_xor_b32_e32 v16, s12, v16
	v_and_b32_e32 v30, v30, v16
	v_lshlrev_b32_e32 v16, 27, v17
	v_cmp_gt_i64_e64 s[12:13], 0, v[15:16]
	v_not_b32_e32 v16, v16
	;; [unrolled: 8-line block ×5, first 2 shown]
	v_ashrrev_i32_e32 v15, 31, v15
	v_xor_b32_e32 v16, s13, v15
	v_xor_b32_e32 v15, s12, v15
	ds_read_b32 v26, v28 offset:32
	v_and_b32_e32 v29, v29, v31
	v_and_b32_e32 v15, v30, v15
	;; [unrolled: 1-line block ×3, first 2 shown]
	v_mbcnt_lo_u32_b32 v17, v15, 0
	v_mbcnt_hi_u32_b32 v29, v16, v17
	v_cmp_ne_u64_e64 s[12:13], 0, v[15:16]
	v_cmp_eq_u32_e64 s[14:15], 0, v29
	s_and_b64 s[14:15], s[12:13], s[14:15]
	; wave barrier
	s_and_saveexec_b64 s[12:13], s[14:15]
	s_cbranch_execz .LBB14_17
; %bb.16:
	v_bcnt_u32_b32 v15, v15, 0
	v_bcnt_u32_b32 v15, v16, v15
	s_waitcnt lgkmcnt(0)
	v_add_u32_e32 v15, v26, v15
	ds_write_b32 v28, v15 offset:32
.LBB14_17:
	s_or_b64 exec, exec, s[12:13]
	v_lshrrev_b64 v[15:16], s48, v[9:10]
	v_and_b32_e32 v17, s33, v15
	v_mul_lo_u32 v16, v17, 36
	v_and_b32_e32 v32, 1, v17
	v_mov_b32_e32 v15, 0
	; wave barrier
	v_lshl_add_u32 v31, v18, 2, v16
	v_add_co_u32_e64 v16, s[12:13], -1, v32
	v_addc_co_u32_e64 v33, s[12:13], 0, -1, s[12:13]
	v_cmp_ne_u32_e64 s[12:13], 0, v32
	v_xor_b32_e32 v16, s12, v16
	v_xor_b32_e32 v32, s13, v33
	v_and_b32_e32 v33, exec_lo, v16
	v_lshlrev_b32_e32 v16, 30, v17
	v_cmp_gt_i64_e64 s[12:13], 0, v[15:16]
	v_not_b32_e32 v16, v16
	v_ashrrev_i32_e32 v16, 31, v16
	v_xor_b32_e32 v34, s13, v16
	v_xor_b32_e32 v16, s12, v16
	v_and_b32_e32 v33, v33, v16
	v_lshlrev_b32_e32 v16, 29, v17
	v_cmp_gt_i64_e64 s[12:13], 0, v[15:16]
	v_not_b32_e32 v16, v16
	v_and_b32_e32 v32, exec_hi, v32
	v_ashrrev_i32_e32 v16, 31, v16
	v_and_b32_e32 v32, v32, v34
	v_xor_b32_e32 v34, s13, v16
	v_xor_b32_e32 v16, s12, v16
	v_and_b32_e32 v33, v33, v16
	v_lshlrev_b32_e32 v16, 28, v17
	v_cmp_gt_i64_e64 s[12:13], 0, v[15:16]
	v_not_b32_e32 v16, v16
	v_ashrrev_i32_e32 v16, 31, v16
	v_and_b32_e32 v32, v32, v34
	v_xor_b32_e32 v34, s13, v16
	v_xor_b32_e32 v16, s12, v16
	v_and_b32_e32 v33, v33, v16
	v_lshlrev_b32_e32 v16, 27, v17
	v_cmp_gt_i64_e64 s[12:13], 0, v[15:16]
	v_not_b32_e32 v16, v16
	;; [unrolled: 8-line block ×5, first 2 shown]
	v_ashrrev_i32_e32 v16, 31, v16
	v_xor_b32_e32 v17, s13, v16
	v_xor_b32_e32 v16, s12, v16
	ds_read_b32 v30, v31 offset:32
	v_and_b32_e32 v32, v32, v34
	v_and_b32_e32 v16, v33, v16
	;; [unrolled: 1-line block ×3, first 2 shown]
	v_mbcnt_lo_u32_b32 v32, v16, 0
	v_mbcnt_hi_u32_b32 v32, v17, v32
	v_cmp_ne_u64_e64 s[12:13], 0, v[16:17]
	v_cmp_eq_u32_e64 s[14:15], 0, v32
	s_and_b64 s[14:15], s[12:13], s[14:15]
	; wave barrier
	s_and_saveexec_b64 s[12:13], s[14:15]
	s_cbranch_execz .LBB14_19
; %bb.18:
	v_bcnt_u32_b32 v16, v16, 0
	v_bcnt_u32_b32 v16, v17, v16
	s_waitcnt lgkmcnt(0)
	v_add_u32_e32 v16, v30, v16
	ds_write_b32 v31, v16 offset:32
.LBB14_19:
	s_or_b64 exec, exec, s[12:13]
	v_lshrrev_b64 v[16:17], s48, v[7:8]
	v_and_b32_e32 v17, s33, v16
	v_mul_lo_u32 v16, v17, 36
	v_and_b32_e32 v35, 1, v17
	; wave barrier
	v_lshl_add_u32 v34, v18, 2, v16
	v_add_co_u32_e64 v16, s[12:13], -1, v35
	v_addc_co_u32_e64 v36, s[12:13], 0, -1, s[12:13]
	v_cmp_ne_u32_e64 s[12:13], 0, v35
	v_xor_b32_e32 v16, s12, v16
	v_xor_b32_e32 v35, s13, v36
	v_and_b32_e32 v36, exec_lo, v16
	v_lshlrev_b32_e32 v16, 30, v17
	v_cmp_gt_i64_e64 s[12:13], 0, v[15:16]
	v_not_b32_e32 v16, v16
	v_ashrrev_i32_e32 v16, 31, v16
	v_xor_b32_e32 v37, s13, v16
	v_xor_b32_e32 v16, s12, v16
	v_and_b32_e32 v36, v36, v16
	v_lshlrev_b32_e32 v16, 29, v17
	v_cmp_gt_i64_e64 s[12:13], 0, v[15:16]
	v_not_b32_e32 v16, v16
	v_and_b32_e32 v35, exec_hi, v35
	v_ashrrev_i32_e32 v16, 31, v16
	v_and_b32_e32 v35, v35, v37
	v_xor_b32_e32 v37, s13, v16
	v_xor_b32_e32 v16, s12, v16
	v_and_b32_e32 v36, v36, v16
	v_lshlrev_b32_e32 v16, 28, v17
	v_cmp_gt_i64_e64 s[12:13], 0, v[15:16]
	v_not_b32_e32 v16, v16
	v_ashrrev_i32_e32 v16, 31, v16
	v_and_b32_e32 v35, v35, v37
	v_xor_b32_e32 v37, s13, v16
	v_xor_b32_e32 v16, s12, v16
	v_and_b32_e32 v36, v36, v16
	v_lshlrev_b32_e32 v16, 27, v17
	v_cmp_gt_i64_e64 s[12:13], 0, v[15:16]
	v_not_b32_e32 v16, v16
	;; [unrolled: 8-line block ×5, first 2 shown]
	v_ashrrev_i32_e32 v15, 31, v15
	v_xor_b32_e32 v16, s13, v15
	v_xor_b32_e32 v15, s12, v15
	ds_read_b32 v33, v34 offset:32
	v_and_b32_e32 v35, v35, v37
	v_and_b32_e32 v15, v36, v15
	;; [unrolled: 1-line block ×3, first 2 shown]
	v_mbcnt_lo_u32_b32 v17, v15, 0
	v_mbcnt_hi_u32_b32 v35, v16, v17
	v_cmp_ne_u64_e64 s[12:13], 0, v[15:16]
	v_cmp_eq_u32_e64 s[14:15], 0, v35
	s_and_b64 s[14:15], s[12:13], s[14:15]
	; wave barrier
	s_and_saveexec_b64 s[12:13], s[14:15]
	s_cbranch_execz .LBB14_21
; %bb.20:
	v_bcnt_u32_b32 v15, v15, 0
	v_bcnt_u32_b32 v15, v16, v15
	s_waitcnt lgkmcnt(0)
	v_add_u32_e32 v15, v33, v15
	ds_write_b32 v34, v15 offset:32
.LBB14_21:
	s_or_b64 exec, exec, s[12:13]
	v_lshrrev_b64 v[15:16], s48, v[13:14]
	v_and_b32_e32 v17, s33, v15
	v_mul_lo_u32 v16, v17, 36
	v_and_b32_e32 v38, 1, v17
	v_mov_b32_e32 v15, 0
	; wave barrier
	v_lshl_add_u32 v37, v18, 2, v16
	v_add_co_u32_e64 v16, s[12:13], -1, v38
	v_addc_co_u32_e64 v39, s[12:13], 0, -1, s[12:13]
	v_cmp_ne_u32_e64 s[12:13], 0, v38
	v_xor_b32_e32 v16, s12, v16
	v_xor_b32_e32 v38, s13, v39
	v_and_b32_e32 v39, exec_lo, v16
	v_lshlrev_b32_e32 v16, 30, v17
	v_cmp_gt_i64_e64 s[12:13], 0, v[15:16]
	v_not_b32_e32 v16, v16
	v_ashrrev_i32_e32 v16, 31, v16
	v_xor_b32_e32 v40, s13, v16
	v_xor_b32_e32 v16, s12, v16
	v_and_b32_e32 v39, v39, v16
	v_lshlrev_b32_e32 v16, 29, v17
	v_cmp_gt_i64_e64 s[12:13], 0, v[15:16]
	v_not_b32_e32 v16, v16
	v_and_b32_e32 v38, exec_hi, v38
	v_ashrrev_i32_e32 v16, 31, v16
	v_and_b32_e32 v38, v38, v40
	v_xor_b32_e32 v40, s13, v16
	v_xor_b32_e32 v16, s12, v16
	v_and_b32_e32 v39, v39, v16
	v_lshlrev_b32_e32 v16, 28, v17
	v_cmp_gt_i64_e64 s[12:13], 0, v[15:16]
	v_not_b32_e32 v16, v16
	v_ashrrev_i32_e32 v16, 31, v16
	v_and_b32_e32 v38, v38, v40
	v_xor_b32_e32 v40, s13, v16
	v_xor_b32_e32 v16, s12, v16
	v_and_b32_e32 v39, v39, v16
	v_lshlrev_b32_e32 v16, 27, v17
	v_cmp_gt_i64_e64 s[12:13], 0, v[15:16]
	v_not_b32_e32 v16, v16
	;; [unrolled: 8-line block ×5, first 2 shown]
	v_ashrrev_i32_e32 v16, 31, v16
	v_xor_b32_e32 v17, s13, v16
	v_xor_b32_e32 v16, s12, v16
	ds_read_b32 v36, v37 offset:32
	v_and_b32_e32 v38, v38, v40
	v_and_b32_e32 v16, v39, v16
	;; [unrolled: 1-line block ×3, first 2 shown]
	v_mbcnt_lo_u32_b32 v38, v16, 0
	v_mbcnt_hi_u32_b32 v38, v17, v38
	v_cmp_ne_u64_e64 s[12:13], 0, v[16:17]
	v_cmp_eq_u32_e64 s[14:15], 0, v38
	s_and_b64 s[14:15], s[12:13], s[14:15]
	; wave barrier
	s_and_saveexec_b64 s[12:13], s[14:15]
	s_cbranch_execz .LBB14_23
; %bb.22:
	v_bcnt_u32_b32 v16, v16, 0
	v_bcnt_u32_b32 v16, v17, v16
	s_waitcnt lgkmcnt(0)
	v_add_u32_e32 v16, v36, v16
	ds_write_b32 v37, v16 offset:32
.LBB14_23:
	s_or_b64 exec, exec, s[12:13]
	v_lshrrev_b64 v[16:17], s48, v[11:12]
	v_and_b32_e32 v17, s33, v16
	v_mul_lo_u32 v16, v17, 36
	v_and_b32_e32 v41, 1, v17
	; wave barrier
	v_lshl_add_u32 v40, v18, 2, v16
	v_add_co_u32_e64 v16, s[12:13], -1, v41
	v_addc_co_u32_e64 v18, s[12:13], 0, -1, s[12:13]
	v_cmp_ne_u32_e64 s[12:13], 0, v41
	v_xor_b32_e32 v16, s12, v16
	v_and_b32_e32 v41, exec_lo, v16
	v_lshlrev_b32_e32 v16, 30, v17
	v_xor_b32_e32 v18, s13, v18
	v_cmp_gt_i64_e64 s[12:13], 0, v[15:16]
	v_not_b32_e32 v16, v16
	v_ashrrev_i32_e32 v16, 31, v16
	v_xor_b32_e32 v42, s13, v16
	v_xor_b32_e32 v16, s12, v16
	v_and_b32_e32 v41, v41, v16
	v_lshlrev_b32_e32 v16, 29, v17
	v_cmp_gt_i64_e64 s[12:13], 0, v[15:16]
	v_not_b32_e32 v16, v16
	v_and_b32_e32 v18, exec_hi, v18
	v_ashrrev_i32_e32 v16, 31, v16
	v_and_b32_e32 v18, v18, v42
	v_xor_b32_e32 v42, s13, v16
	v_xor_b32_e32 v16, s12, v16
	v_and_b32_e32 v41, v41, v16
	v_lshlrev_b32_e32 v16, 28, v17
	v_cmp_gt_i64_e64 s[12:13], 0, v[15:16]
	v_not_b32_e32 v16, v16
	v_ashrrev_i32_e32 v16, 31, v16
	v_and_b32_e32 v18, v18, v42
	v_xor_b32_e32 v42, s13, v16
	v_xor_b32_e32 v16, s12, v16
	v_and_b32_e32 v41, v41, v16
	v_lshlrev_b32_e32 v16, 27, v17
	v_cmp_gt_i64_e64 s[12:13], 0, v[15:16]
	v_not_b32_e32 v16, v16
	;; [unrolled: 8-line block ×5, first 2 shown]
	v_ashrrev_i32_e32 v15, 31, v15
	v_xor_b32_e32 v16, s13, v15
	v_xor_b32_e32 v15, s12, v15
	ds_read_b32 v39, v40 offset:32
	v_and_b32_e32 v18, v18, v42
	v_and_b32_e32 v15, v41, v15
	;; [unrolled: 1-line block ×3, first 2 shown]
	v_mbcnt_lo_u32_b32 v17, v15, 0
	v_mbcnt_hi_u32_b32 v41, v16, v17
	v_cmp_ne_u64_e64 s[12:13], 0, v[15:16]
	v_cmp_eq_u32_e64 s[14:15], 0, v41
	s_and_b64 s[14:15], s[12:13], s[14:15]
	; wave barrier
	s_and_saveexec_b64 s[12:13], s[14:15]
	s_cbranch_execz .LBB14_25
; %bb.24:
	v_bcnt_u32_b32 v15, v15, 0
	v_bcnt_u32_b32 v15, v16, v15
	s_waitcnt lgkmcnt(0)
	v_add_u32_e32 v15, v39, v15
	ds_write_b32 v40, v15 offset:32
.LBB14_25:
	s_or_b64 exec, exec, s[12:13]
	; wave barrier
	s_waitcnt lgkmcnt(0)
	s_barrier
	ds_read2_b32 v[17:18], v24 offset0:8 offset1:9
	ds_read2_b32 v[15:16], v24 offset0:10 offset1:11
	ds_read_b32 v42, v24 offset:48
	v_min_u32_e32 v23, 0x1c0, v23
	v_or_b32_e32 v23, 63, v23
	s_waitcnt lgkmcnt(1)
	v_add3_u32 v43, v18, v17, v15
	s_waitcnt lgkmcnt(0)
	v_add3_u32 v42, v43, v16, v42
	v_and_b32_e32 v43, 15, v22
	v_cmp_ne_u32_e64 s[12:13], 0, v43
	v_mov_b32_dpp v44, v42 row_shr:1 row_mask:0xf bank_mask:0xf
	v_cndmask_b32_e64 v44, 0, v44, s[12:13]
	v_add_u32_e32 v42, v44, v42
	v_cmp_lt_u32_e64 s[12:13], 1, v43
	s_nop 0
	v_mov_b32_dpp v44, v42 row_shr:2 row_mask:0xf bank_mask:0xf
	v_cndmask_b32_e64 v44, 0, v44, s[12:13]
	v_add_u32_e32 v42, v42, v44
	v_cmp_lt_u32_e64 s[12:13], 3, v43
	s_nop 0
	;; [unrolled: 5-line block ×3, first 2 shown]
	v_mov_b32_dpp v44, v42 row_shr:8 row_mask:0xf bank_mask:0xf
	v_cndmask_b32_e64 v43, 0, v44, s[12:13]
	v_add_u32_e32 v42, v42, v43
	v_bfe_i32 v44, v22, 4, 1
	v_cmp_lt_u32_e64 s[12:13], 31, v22
	v_mov_b32_dpp v43, v42 row_bcast:15 row_mask:0xf bank_mask:0xf
	v_and_b32_e32 v43, v44, v43
	v_add_u32_e32 v42, v42, v43
	s_nop 1
	v_mov_b32_dpp v43, v42 row_bcast:31 row_mask:0xf bank_mask:0xf
	v_cndmask_b32_e64 v43, 0, v43, s[12:13]
	v_add_u32_e32 v42, v42, v43
	v_lshrrev_b32_e32 v43, 6, v0
	v_cmp_eq_u32_e64 s[12:13], v0, v23
	s_and_saveexec_b64 s[14:15], s[12:13]
; %bb.26:
	v_lshlrev_b32_e32 v23, 2, v43
	ds_write_b32 v23, v42
; %bb.27:
	s_or_b64 exec, exec, s[14:15]
	v_cmp_gt_u32_e64 s[12:13], 8, v0
	s_waitcnt lgkmcnt(0)
	s_barrier
	s_and_saveexec_b64 s[14:15], s[12:13]
	s_cbranch_execz .LBB14_29
; %bb.28:
	v_lshlrev_b32_e32 v23, 2, v0
	ds_read_b32 v44, v23
	v_and_b32_e32 v45, 7, v22
	v_cmp_ne_u32_e64 s[12:13], 0, v45
	s_waitcnt lgkmcnt(0)
	v_mov_b32_dpp v46, v44 row_shr:1 row_mask:0xf bank_mask:0xf
	v_cndmask_b32_e64 v46, 0, v46, s[12:13]
	v_add_u32_e32 v44, v46, v44
	v_cmp_lt_u32_e64 s[12:13], 1, v45
	s_nop 0
	v_mov_b32_dpp v46, v44 row_shr:2 row_mask:0xf bank_mask:0xf
	v_cndmask_b32_e64 v46, 0, v46, s[12:13]
	v_add_u32_e32 v44, v44, v46
	v_cmp_lt_u32_e64 s[12:13], 3, v45
	s_nop 0
	v_mov_b32_dpp v46, v44 row_shr:4 row_mask:0xf bank_mask:0xf
	v_cndmask_b32_e64 v45, 0, v46, s[12:13]
	v_add_u32_e32 v44, v44, v45
	ds_write_b32 v23, v44
.LBB14_29:
	s_or_b64 exec, exec, s[14:15]
	v_cmp_lt_u32_e64 s[12:13], 63, v0
	v_mov_b32_e32 v23, 0
	s_waitcnt lgkmcnt(0)
	s_barrier
	s_and_saveexec_b64 s[14:15], s[12:13]
; %bb.30:
	v_lshl_add_u32 v23, v43, 2, -4
	ds_read_b32 v23, v23
; %bb.31:
	s_or_b64 exec, exec, s[14:15]
	v_add_u32_e32 v43, -1, v22
	v_and_b32_e32 v44, 64, v22
	v_cmp_lt_i32_e64 s[12:13], v43, v44
	v_cndmask_b32_e64 v43, v43, v22, s[12:13]
	s_waitcnt lgkmcnt(0)
	v_add_u32_e32 v42, v23, v42
	v_lshlrev_b32_e32 v43, 2, v43
	ds_bpermute_b32 v42, v43, v42
	v_cmp_eq_u32_e64 s[12:13], 0, v22
	s_movk_i32 s16, 0x100
	v_cmp_gt_u32_e64 s[14:15], s16, v0
	s_waitcnt lgkmcnt(0)
	v_cndmask_b32_e64 v22, v42, v23, s[12:13]
	v_cmp_ne_u32_e64 s[12:13], 0, v0
	v_cndmask_b32_e64 v22, 0, v22, s[12:13]
	v_add_u32_e32 v17, v22, v17
	v_add_u32_e32 v18, v17, v18
	;; [unrolled: 1-line block ×4, first 2 shown]
	ds_write2_b32 v24, v22, v17 offset0:8 offset1:9
	ds_write2_b32 v24, v18, v15 offset0:10 offset1:11
	ds_write_b32 v24, v16 offset:48
	s_waitcnt lgkmcnt(0)
	s_barrier
	ds_read_b32 v24, v27 offset:32
	ds_read_b32 v28, v28 offset:32
	;; [unrolled: 1-line block ×6, first 2 shown]
	s_movk_i32 s12, 0xff
	v_mov_b32_e32 v15, 0
	v_cmp_lt_u32_e64 s[12:13], s12, v0
	v_mov_b32_e32 v16, 0
                                        ; implicit-def: $vgpr22
	s_and_saveexec_b64 s[18:19], s[14:15]
	s_cbranch_execz .LBB14_35
; %bb.32:
	v_mul_u32_u24_e32 v15, 36, v0
	ds_read_b32 v15, v15 offset:32
	v_add_u32_e32 v22, 1, v0
	v_cmp_ne_u32_e64 s[16:17], s16, v22
	v_mov_b32_e32 v16, 0xc00
	s_and_saveexec_b64 s[20:21], s[16:17]
; %bb.33:
	v_mul_u32_u24_e32 v16, 36, v22
	ds_read_b32 v16, v16 offset:32
; %bb.34:
	s_or_b64 exec, exec, s[20:21]
	s_waitcnt lgkmcnt(0)
	v_sub_u32_e32 v22, v16, v15
	v_mov_b32_e32 v16, 0
.LBB14_35:
	s_or_b64 exec, exec, s[18:19]
	v_lshlrev_b32_e32 v25, 3, v25
	s_waitcnt lgkmcnt(5)
	v_lshl_add_u32 v24, v24, 3, v25
	s_waitcnt lgkmcnt(0)
	s_barrier
	ds_write_b64 v24, v[5:6] offset:2048
	v_lshlrev_b32_e32 v5, 3, v28
	v_lshlrev_b32_e32 v6, 3, v29
	;; [unrolled: 1-line block ×3, first 2 shown]
	v_add3_u32 v25, v5, v6, v25
	ds_write_b64 v25, v[3:4] offset:2048
	v_lshlrev_b32_e32 v3, 3, v27
	v_lshlrev_b32_e32 v4, 3, v32
	v_lshlrev_b32_e32 v5, 3, v30
	v_add3_u32 v26, v3, v4, v5
	v_lshlrev_b32_e32 v3, 3, v23
	v_lshlrev_b32_e32 v4, 3, v35
	v_lshlrev_b32_e32 v5, 3, v33
	v_add3_u32 v27, v3, v4, v5
	;; [unrolled: 4-line block ×4, first 2 shown]
	v_mov_b32_e32 v4, 0
	v_lshlrev_b32_e32 v23, 3, v0
	ds_write_b64 v26, v[9:10] offset:2048
	ds_write_b64 v27, v[7:8] offset:2048
	;; [unrolled: 1-line block ×4, first 2 shown]
	s_waitcnt lgkmcnt(0)
	s_barrier
	s_and_saveexec_b64 s[16:17], s[14:15]
	s_cbranch_execz .LBB14_45
; %bb.36:
	v_lshl_add_u32 v3, s6, 8, v0
	v_lshlrev_b64 v[5:6], 2, v[3:4]
	v_mov_b32_e32 v9, s31
	v_add_co_u32_e64 v5, s[14:15], s30, v5
	v_addc_co_u32_e64 v6, s[14:15], v9, v6, s[14:15]
	v_or_b32_e32 v3, 2.0, v22
	s_mov_b64 s[18:19], 0
	s_brev_b32 s24, -4
	s_mov_b32 s25, s6
	v_mov_b32_e32 v10, 0
	global_store_dword v[5:6], v3, off
                                        ; implicit-def: $sgpr14_sgpr15
	s_branch .LBB14_39
.LBB14_37:                              ;   in Loop: Header=BB14_39 Depth=1
	s_or_b64 exec, exec, s[22:23]
.LBB14_38:                              ;   in Loop: Header=BB14_39 Depth=1
	s_or_b64 exec, exec, s[20:21]
	v_and_b32_e32 v7, 0x3fffffff, v3
	v_add_u32_e32 v10, v7, v10
	v_cmp_gt_i32_e64 s[14:15], -2.0, v3
	s_and_b64 s[20:21], exec, s[14:15]
	s_or_b64 s[18:19], s[20:21], s[18:19]
	s_andn2_b64 exec, exec, s[18:19]
	s_cbranch_execz .LBB14_44
.LBB14_39:                              ; =>This Loop Header: Depth=1
                                        ;     Child Loop BB14_42 Depth 2
	s_or_b64 s[14:15], s[14:15], exec
	s_cmp_eq_u32 s25, 0
	s_cbranch_scc1 .LBB14_43
; %bb.40:                               ;   in Loop: Header=BB14_39 Depth=1
	s_add_i32 s25, s25, -1
	v_lshl_or_b32 v3, s25, 8, v0
	v_lshlrev_b64 v[7:8], 2, v[3:4]
	v_add_co_u32_e64 v7, s[14:15], s30, v7
	v_addc_co_u32_e64 v8, s[14:15], v9, v8, s[14:15]
	global_load_dword v3, v[7:8], off glc
	s_waitcnt vmcnt(0)
	v_cmp_gt_u32_e64 s[14:15], 2.0, v3
	s_and_saveexec_b64 s[20:21], s[14:15]
	s_cbranch_execz .LBB14_38
; %bb.41:                               ;   in Loop: Header=BB14_39 Depth=1
	s_mov_b64 s[22:23], 0
.LBB14_42:                              ;   Parent Loop BB14_39 Depth=1
                                        ; =>  This Inner Loop Header: Depth=2
	global_load_dword v3, v[7:8], off glc
	s_waitcnt vmcnt(0)
	v_cmp_lt_u32_e64 s[14:15], s24, v3
	s_or_b64 s[22:23], s[14:15], s[22:23]
	s_andn2_b64 exec, exec, s[22:23]
	s_cbranch_execnz .LBB14_42
	s_branch .LBB14_37
.LBB14_43:                              ;   in Loop: Header=BB14_39 Depth=1
                                        ; implicit-def: $sgpr25
	s_and_b64 s[20:21], exec, s[14:15]
	s_or_b64 s[18:19], s[20:21], s[18:19]
	s_andn2_b64 exec, exec, s[18:19]
	s_cbranch_execnz .LBB14_39
.LBB14_44:
	s_or_b64 exec, exec, s[18:19]
	v_add_u32_e32 v3, v10, v22
	v_or_b32_e32 v3, 0x80000000, v3
	global_store_dword v[5:6], v3, off
	global_load_dwordx2 v[3:4], v23, s[44:45]
	v_sub_co_u32_e64 v5, s[14:15], v10, v15
	v_subb_co_u32_e64 v6, s[14:15], 0, v16, s[14:15]
	s_waitcnt vmcnt(0)
	v_add_co_u32_e64 v3, s[14:15], v5, v3
	v_addc_co_u32_e64 v4, s[14:15], v6, v4, s[14:15]
	ds_write_b64 v23, v[3:4]
.LBB14_45:
	s_or_b64 exec, exec, s[16:17]
	v_cmp_gt_u32_e64 s[14:15], s35, v0
	s_waitcnt lgkmcnt(0)
	s_barrier
	s_and_saveexec_b64 s[18:19], s[14:15]
	s_cbranch_execz .LBB14_47
; %bb.46:
	ds_read_b64 v[3:4], v23 offset:2048
	v_mov_b32_e32 v7, s39
	s_waitcnt lgkmcnt(0)
	v_lshrrev_b64 v[5:6], s48, v[3:4]
	v_not_b32_e32 v4, v4
	v_and_b32_e32 v5, s33, v5
	v_lshlrev_b32_e32 v5, 3, v5
	ds_read_b64 v[5:6], v5
	v_not_b32_e32 v3, v3
	s_waitcnt lgkmcnt(0)
	v_lshlrev_b64 v[5:6], 3, v[5:6]
	v_add_co_u32_e64 v5, s[16:17], s38, v5
	v_addc_co_u32_e64 v6, s[16:17], v7, v6, s[16:17]
	v_add_co_u32_e64 v5, s[16:17], v5, v23
	v_addc_co_u32_e64 v6, s[16:17], 0, v6, s[16:17]
	global_store_dwordx2 v[5:6], v[3:4], off
.LBB14_47:
	s_or_b64 exec, exec, s[18:19]
	v_or_b32_e32 v3, 0x200, v0
	v_cmp_gt_u32_e64 s[16:17], s35, v3
	v_lshlrev_b32_e32 v30, 3, v3
	s_and_saveexec_b64 s[20:21], s[16:17]
	s_cbranch_execz .LBB14_49
; %bb.48:
	ds_read_b64 v[3:4], v23 offset:6144
	v_mov_b32_e32 v7, s39
	s_waitcnt lgkmcnt(0)
	v_lshrrev_b64 v[5:6], s48, v[3:4]
	v_not_b32_e32 v4, v4
	v_and_b32_e32 v5, s33, v5
	v_lshlrev_b32_e32 v5, 3, v5
	ds_read_b64 v[5:6], v5
	v_not_b32_e32 v3, v3
	s_waitcnt lgkmcnt(0)
	v_lshlrev_b64 v[5:6], 3, v[5:6]
	v_add_co_u32_e64 v5, s[18:19], s38, v5
	v_addc_co_u32_e64 v6, s[18:19], v7, v6, s[18:19]
	v_add_co_u32_e64 v5, s[18:19], v5, v30
	v_addc_co_u32_e64 v6, s[18:19], 0, v6, s[18:19]
	global_store_dwordx2 v[5:6], v[3:4], off
.LBB14_49:
	s_or_b64 exec, exec, s[20:21]
	v_or_b32_e32 v3, 0x400, v0
	v_cmp_gt_u32_e64 s[18:19], s35, v3
	v_lshlrev_b32_e32 v31, 3, v3
	;; [unrolled: 24-line block ×5, first 2 shown]
	s_and_saveexec_b64 s[52:53], s[24:25]
	s_cbranch_execz .LBB14_57
; %bb.56:
	ds_read_b64 v[3:4], v23 offset:22528
	v_mov_b32_e32 v7, s39
	s_waitcnt lgkmcnt(0)
	v_lshrrev_b64 v[5:6], s48, v[3:4]
	v_not_b32_e32 v4, v4
	v_and_b32_e32 v5, s33, v5
	v_lshlrev_b32_e32 v5, 3, v5
	ds_read_b64 v[5:6], v5
	v_not_b32_e32 v3, v3
	s_waitcnt lgkmcnt(0)
	v_lshlrev_b64 v[5:6], 3, v[5:6]
	v_add_co_u32_e64 v5, s[28:29], s38, v5
	v_addc_co_u32_e64 v6, s[28:29], v7, v6, s[28:29]
	v_add_co_u32_e64 v5, s[28:29], v5, v34
	v_addc_co_u32_e64 v6, s[28:29], 0, v6, s[28:29]
	global_store_dwordx2 v[5:6], v[3:4], off
.LBB14_57:
	s_or_b64 exec, exec, s[52:53]
	s_add_u32 s28, s40, s50
	s_addc_u32 s29, s41, s51
	v_mov_b32_e32 v3, s29
	v_add_co_u32_e64 v4, s[28:29], s28, v20
	v_addc_co_u32_e64 v3, s[28:29], 0, v3, s[28:29]
	v_add_co_u32_e64 v17, s[28:29], v4, v21
	v_addc_co_u32_e64 v18, s[28:29], 0, v3, s[28:29]
                                        ; implicit-def: $vgpr3_vgpr4
	s_and_saveexec_b64 s[28:29], vcc
	s_xor_b64 s[28:29], exec, s[28:29]
	s_cbranch_execz .LBB14_63
; %bb.58:
	global_load_dwordx2 v[3:4], v[17:18], off
	s_or_b64 exec, exec, s[28:29]
                                        ; implicit-def: $vgpr5_vgpr6
	s_and_saveexec_b64 s[28:29], s[0:1]
	s_cbranch_execnz .LBB14_64
.LBB14_59:
	s_or_b64 exec, exec, s[28:29]
                                        ; implicit-def: $vgpr7_vgpr8
	s_and_saveexec_b64 s[0:1], s[2:3]
	s_cbranch_execz .LBB14_65
.LBB14_60:
	global_load_dwordx2 v[7:8], v[17:18], off offset:1024
	s_or_b64 exec, exec, s[0:1]
                                        ; implicit-def: $vgpr9_vgpr10
	s_and_saveexec_b64 s[0:1], s[26:27]
	s_cbranch_execnz .LBB14_66
.LBB14_61:
	s_or_b64 exec, exec, s[0:1]
                                        ; implicit-def: $vgpr11_vgpr12
	s_and_saveexec_b64 s[0:1], s[8:9]
	s_cbranch_execz .LBB14_67
.LBB14_62:
	global_load_dwordx2 v[11:12], v[17:18], off offset:2048
	s_or_b64 exec, exec, s[0:1]
                                        ; implicit-def: $vgpr13_vgpr14
	s_and_saveexec_b64 s[0:1], s[10:11]
	s_cbranch_execnz .LBB14_68
	s_branch .LBB14_69
.LBB14_63:
	s_or_b64 exec, exec, s[28:29]
                                        ; implicit-def: $vgpr5_vgpr6
	s_and_saveexec_b64 s[28:29], s[0:1]
	s_cbranch_execz .LBB14_59
.LBB14_64:
	global_load_dwordx2 v[5:6], v[17:18], off offset:512
	s_or_b64 exec, exec, s[28:29]
                                        ; implicit-def: $vgpr7_vgpr8
	s_and_saveexec_b64 s[0:1], s[2:3]
	s_cbranch_execnz .LBB14_60
.LBB14_65:
	s_or_b64 exec, exec, s[0:1]
                                        ; implicit-def: $vgpr9_vgpr10
	s_and_saveexec_b64 s[0:1], s[26:27]
	s_cbranch_execz .LBB14_61
.LBB14_66:
	global_load_dwordx2 v[9:10], v[17:18], off offset:1536
	s_or_b64 exec, exec, s[0:1]
                                        ; implicit-def: $vgpr11_vgpr12
	s_and_saveexec_b64 s[0:1], s[8:9]
	s_cbranch_execnz .LBB14_62
.LBB14_67:
	s_or_b64 exec, exec, s[0:1]
                                        ; implicit-def: $vgpr13_vgpr14
	s_and_saveexec_b64 s[0:1], s[10:11]
	s_cbranch_execz .LBB14_69
.LBB14_68:
	global_load_dwordx2 v[13:14], v[17:18], off offset:2560
.LBB14_69:
	s_or_b64 exec, exec, s[0:1]
	v_mov_b32_e32 v21, 0
	v_mov_b32_e32 v36, 0
	s_and_saveexec_b64 s[0:1], s[14:15]
	s_cbranch_execz .LBB14_71
; %bb.70:
	ds_read_b64 v[17:18], v23 offset:2048
	s_waitcnt lgkmcnt(0)
	v_lshrrev_b64 v[17:18], s48, v[17:18]
	v_and_b32_e32 v36, s33, v17
.LBB14_71:
	s_or_b64 exec, exec, s[0:1]
	s_and_saveexec_b64 s[0:1], s[16:17]
	s_cbranch_execz .LBB14_73
; %bb.72:
	ds_read_b64 v[17:18], v23 offset:6144
	s_waitcnt lgkmcnt(0)
	v_lshrrev_b64 v[17:18], s48, v[17:18]
	v_and_b32_e32 v21, s33, v17
.LBB14_73:
	s_or_b64 exec, exec, s[0:1]
	v_mov_b32_e32 v18, 0
	v_mov_b32_e32 v35, 0
	s_and_saveexec_b64 s[0:1], s[18:19]
	s_cbranch_execz .LBB14_75
; %bb.74:
	ds_read_b64 v[37:38], v23 offset:10240
	s_waitcnt lgkmcnt(0)
	v_lshrrev_b64 v[37:38], s48, v[37:38]
	v_and_b32_e32 v35, s33, v37
.LBB14_75:
	s_or_b64 exec, exec, s[0:1]
	s_and_saveexec_b64 s[0:1], s[20:21]
	s_cbranch_execz .LBB14_77
; %bb.76:
	ds_read_b64 v[17:18], v23 offset:14336
	s_waitcnt lgkmcnt(0)
	v_lshrrev_b64 v[17:18], s48, v[17:18]
	v_and_b32_e32 v18, s33, v17
.LBB14_77:
	;; [unrolled: 20-line block ×3, first 2 shown]
	s_or_b64 exec, exec, s[0:1]
	s_waitcnt vmcnt(0)
	s_barrier
	ds_write_b64 v24, v[3:4] offset:2048
	ds_write_b64 v25, v[5:6] offset:2048
	;; [unrolled: 1-line block ×6, first 2 shown]
	s_waitcnt lgkmcnt(0)
	s_barrier
	s_and_saveexec_b64 s[0:1], s[14:15]
	s_cbranch_execz .LBB14_87
; %bb.82:
	v_lshlrev_b32_e32 v3, 3, v36
	ds_read_b64 v[3:4], v3
	ds_read_b64 v[5:6], v23 offset:2048
	v_mov_b32_e32 v7, s43
	s_waitcnt lgkmcnt(1)
	v_lshlrev_b64 v[3:4], 3, v[3:4]
	v_add_co_u32_e32 v3, vcc, s42, v3
	v_addc_co_u32_e32 v4, vcc, v7, v4, vcc
	v_add_co_u32_e32 v3, vcc, v3, v23
	v_addc_co_u32_e32 v4, vcc, 0, v4, vcc
	s_waitcnt lgkmcnt(0)
	global_store_dwordx2 v[3:4], v[5:6], off
	s_or_b64 exec, exec, s[0:1]
	s_and_saveexec_b64 s[0:1], s[16:17]
	s_cbranch_execnz .LBB14_88
.LBB14_83:
	s_or_b64 exec, exec, s[0:1]
	s_and_saveexec_b64 s[0:1], s[18:19]
	s_cbranch_execz .LBB14_89
.LBB14_84:
	v_lshlrev_b32_e32 v3, 3, v35
	ds_read_b64 v[3:4], v3
	ds_read_b64 v[5:6], v23 offset:10240
	v_mov_b32_e32 v7, s43
	s_waitcnt lgkmcnt(1)
	v_lshlrev_b64 v[3:4], 3, v[3:4]
	v_add_co_u32_e32 v3, vcc, s42, v3
	v_addc_co_u32_e32 v4, vcc, v7, v4, vcc
	v_add_co_u32_e32 v3, vcc, v3, v31
	v_addc_co_u32_e32 v4, vcc, 0, v4, vcc
	s_waitcnt lgkmcnt(0)
	global_store_dwordx2 v[3:4], v[5:6], off
	s_or_b64 exec, exec, s[0:1]
	s_and_saveexec_b64 s[0:1], s[20:21]
	s_cbranch_execnz .LBB14_90
.LBB14_85:
	s_or_b64 exec, exec, s[0:1]
	s_and_saveexec_b64 s[0:1], s[22:23]
	s_cbranch_execz .LBB14_91
.LBB14_86:
	v_lshlrev_b32_e32 v3, 3, v20
	ds_read_b64 v[3:4], v3
	ds_read_b64 v[5:6], v23 offset:18432
	v_mov_b32_e32 v7, s43
	s_waitcnt lgkmcnt(1)
	v_lshlrev_b64 v[3:4], 3, v[3:4]
	v_add_co_u32_e32 v3, vcc, s42, v3
	v_addc_co_u32_e32 v4, vcc, v7, v4, vcc
	v_add_co_u32_e32 v3, vcc, v3, v33
	v_addc_co_u32_e32 v4, vcc, 0, v4, vcc
	s_waitcnt lgkmcnt(0)
	global_store_dwordx2 v[3:4], v[5:6], off
	s_or_b64 exec, exec, s[0:1]
	s_and_saveexec_b64 s[0:1], s[24:25]
	s_cbranch_execnz .LBB14_92
	s_branch .LBB14_93
.LBB14_87:
	s_or_b64 exec, exec, s[0:1]
	s_and_saveexec_b64 s[0:1], s[16:17]
	s_cbranch_execz .LBB14_83
.LBB14_88:
	v_lshlrev_b32_e32 v3, 3, v21
	ds_read_b64 v[3:4], v3
	ds_read_b64 v[5:6], v23 offset:6144
	v_mov_b32_e32 v7, s43
	s_waitcnt lgkmcnt(1)
	v_lshlrev_b64 v[3:4], 3, v[3:4]
	v_add_co_u32_e32 v3, vcc, s42, v3
	v_addc_co_u32_e32 v4, vcc, v7, v4, vcc
	v_add_co_u32_e32 v3, vcc, v3, v30
	v_addc_co_u32_e32 v4, vcc, 0, v4, vcc
	s_waitcnt lgkmcnt(0)
	global_store_dwordx2 v[3:4], v[5:6], off
	s_or_b64 exec, exec, s[0:1]
	s_and_saveexec_b64 s[0:1], s[18:19]
	s_cbranch_execnz .LBB14_84
.LBB14_89:
	s_or_b64 exec, exec, s[0:1]
	s_and_saveexec_b64 s[0:1], s[20:21]
	s_cbranch_execz .LBB14_85
.LBB14_90:
	v_lshlrev_b32_e32 v3, 3, v18
	ds_read_b64 v[3:4], v3
	ds_read_b64 v[5:6], v23 offset:14336
	v_mov_b32_e32 v7, s43
	s_waitcnt lgkmcnt(1)
	v_lshlrev_b64 v[3:4], 3, v[3:4]
	v_add_co_u32_e32 v3, vcc, s42, v3
	v_addc_co_u32_e32 v4, vcc, v7, v4, vcc
	v_add_co_u32_e32 v3, vcc, v3, v32
	v_addc_co_u32_e32 v4, vcc, 0, v4, vcc
	s_waitcnt lgkmcnt(0)
	global_store_dwordx2 v[3:4], v[5:6], off
	s_or_b64 exec, exec, s[0:1]
	s_and_saveexec_b64 s[0:1], s[22:23]
	s_cbranch_execnz .LBB14_86
.LBB14_91:
	s_or_b64 exec, exec, s[0:1]
	s_and_saveexec_b64 s[0:1], s[24:25]
	s_cbranch_execz .LBB14_93
.LBB14_92:
	v_lshlrev_b32_e32 v3, 3, v17
	ds_read_b64 v[3:4], v3
	ds_read_b64 v[5:6], v23 offset:22528
	v_mov_b32_e32 v7, s43
	s_waitcnt lgkmcnt(1)
	v_lshlrev_b64 v[3:4], 3, v[3:4]
	v_add_co_u32_e32 v3, vcc, s42, v3
	v_addc_co_u32_e32 v4, vcc, v7, v4, vcc
	v_add_co_u32_e32 v3, vcc, v3, v34
	v_addc_co_u32_e32 v4, vcc, 0, v4, vcc
	s_waitcnt lgkmcnt(0)
	global_store_dwordx2 v[3:4], v[5:6], off
.LBB14_93:
	s_or_b64 exec, exec, s[0:1]
	s_add_i32 s7, s7, -1
	s_cmp_eq_u32 s6, s7
	s_cselect_b64 s[0:1], -1, 0
	s_xor_b64 s[2:3], s[12:13], -1
	s_and_b64 s[2:3], s[2:3], s[0:1]
	s_and_saveexec_b64 s[0:1], s[2:3]
	s_cbranch_execz .LBB14_95
; %bb.94:
	ds_read_b64 v[3:4], v23
	v_add_co_u32_e32 v5, vcc, v15, v22
	v_addc_co_u32_e32 v6, vcc, 0, v16, vcc
	s_waitcnt lgkmcnt(0)
	v_add_co_u32_e32 v3, vcc, v5, v3
	v_addc_co_u32_e32 v4, vcc, v6, v4, vcc
	global_store_dwordx2 v23, v[3:4], s[46:47]
.LBB14_95:
	s_or_b64 exec, exec, s[0:1]
	s_mov_b64 s[0:1], 0
.LBB14_96:
	s_and_b64 vcc, exec, s[0:1]
	s_cbranch_vccz .LBB14_131
; %bb.97:
	s_mov_b32 s35, 0
	s_lshl_b64 s[8:9], s[34:35], 3
	v_mbcnt_hi_u32_b32 v19, -1, v19
	s_add_u32 s0, s36, s8
	v_lshlrev_b32_e32 v17, 3, v19
	v_add_co_u32_e32 v6, vcc, s0, v17
	s_load_dword s7, s[4:5], 0x50
	s_load_dword s0, s[4:5], 0x5c
	s_addc_u32 s1, s37, s9
	v_and_b32_e32 v21, 0x1c0, v0
	v_mul_u32_u24_e32 v3, 6, v21
	v_mov_b32_e32 v4, s1
	v_addc_co_u32_e32 v4, vcc, 0, v4, vcc
	v_lshlrev_b32_e32 v18, 3, v3
	s_add_u32 s1, s4, 0x50
	v_add_co_u32_e32 v15, vcc, v6, v18
	s_addc_u32 s2, s5, 0
	s_waitcnt lgkmcnt(0)
	s_lshr_b32 s3, s0, 16
	v_addc_co_u32_e32 v16, vcc, 0, v4, vcc
	s_cmp_lt_u32 s6, s7
	global_load_dwordx2 v[22:23], v[15:16], off
	s_cselect_b32 s0, 12, 18
	s_add_u32 s0, s1, s0
	v_mov_b32_e32 v5, 0
	s_addc_u32 s1, s2, 0
	global_load_ushort v6, v5, s[0:1]
	v_mul_u32_u24_e32 v20, 20, v0
	ds_write2_b32 v20, v5, v5 offset0:8 offset1:9
	ds_write2_b32 v20, v5, v5 offset0:10 offset1:11
	ds_write_b32 v20, v5 offset:48
	global_load_dwordx2 v[3:4], v[15:16], off offset:512
	global_load_dwordx2 v[13:14], v[15:16], off offset:1024
	;; [unrolled: 1-line block ×5, first 2 shown]
	v_mad_u32_u24 v24, v2, s3, v1
	s_lshl_b32 s0, -1, s49
	s_not_b32 s14, s0
	s_waitcnt vmcnt(0) lgkmcnt(0)
	s_barrier
	; wave barrier
	v_not_b32_e32 v2, v23
	v_not_b32_e32 v1, v22
	v_lshrrev_b64 v[15:16], s48, v[1:2]
	v_and_b32_e32 v15, s14, v15
	v_mad_u64_u32 v[22:23], s[0:1], v24, v6, v[0:1]
	v_and_b32_e32 v23, 1, v15
	v_add_co_u32_e32 v24, vcc, -1, v23
	v_mul_lo_u32 v16, v15, 36
	v_lshlrev_b32_e32 v6, 30, v15
	v_addc_co_u32_e64 v25, s[0:1], 0, -1, vcc
	v_cmp_ne_u32_e32 vcc, 0, v23
	v_cmp_gt_i64_e64 s[0:1], 0, v[5:6]
	v_not_b32_e32 v23, v6
	v_lshlrev_b32_e32 v6, 29, v15
	v_xor_b32_e32 v25, vcc_hi, v25
	v_xor_b32_e32 v24, vcc_lo, v24
	v_ashrrev_i32_e32 v23, 31, v23
	v_cmp_gt_i64_e32 vcc, 0, v[5:6]
	v_not_b32_e32 v26, v6
	v_lshlrev_b32_e32 v6, 28, v15
	v_lshrrev_b32_e32 v28, 6, v22
	v_and_b32_e32 v25, exec_hi, v25
	v_and_b32_e32 v24, exec_lo, v24
	v_xor_b32_e32 v27, s1, v23
	v_xor_b32_e32 v23, s0, v23
	v_ashrrev_i32_e32 v26, 31, v26
	v_cmp_gt_i64_e64 s[0:1], 0, v[5:6]
	v_not_b32_e32 v29, v6
	v_lshlrev_b32_e32 v6, 27, v15
	v_lshl_add_u32 v22, v28, 2, v16
	v_and_b32_e32 v16, v25, v27
	v_and_b32_e32 v23, v24, v23
	v_xor_b32_e32 v24, vcc_hi, v26
	v_xor_b32_e32 v25, vcc_lo, v26
	v_ashrrev_i32_e32 v26, 31, v29
	v_cmp_gt_i64_e32 vcc, 0, v[5:6]
	v_not_b32_e32 v27, v6
	v_lshlrev_b32_e32 v6, 26, v15
	v_and_b32_e32 v16, v16, v24
	v_and_b32_e32 v23, v23, v25
	v_xor_b32_e32 v24, s1, v26
	v_xor_b32_e32 v25, s0, v26
	v_ashrrev_i32_e32 v26, 31, v27
	v_cmp_gt_i64_e64 s[0:1], 0, v[5:6]
	v_not_b32_e32 v6, v6
	v_and_b32_e32 v16, v16, v24
	v_and_b32_e32 v23, v23, v25
	v_xor_b32_e32 v24, vcc_hi, v26
	v_xor_b32_e32 v25, vcc_lo, v26
	v_ashrrev_i32_e32 v6, 31, v6
	v_and_b32_e32 v16, v16, v24
	v_and_b32_e32 v23, v23, v25
	v_xor_b32_e32 v24, s1, v6
	v_xor_b32_e32 v6, s0, v6
	v_and_b32_e32 v23, v23, v6
	v_lshlrev_b32_e32 v6, 25, v15
	v_cmp_gt_i64_e32 vcc, 0, v[5:6]
	v_not_b32_e32 v6, v6
	v_ashrrev_i32_e32 v6, 31, v6
	v_and_b32_e32 v16, v16, v24
	v_xor_b32_e32 v24, vcc_hi, v6
	v_xor_b32_e32 v6, vcc_lo, v6
	v_and_b32_e32 v23, v23, v6
	v_lshlrev_b32_e32 v6, 24, v15
	v_cmp_gt_i64_e32 vcc, 0, v[5:6]
	v_not_b32_e32 v6, v6
	v_ashrrev_i32_e32 v6, 31, v6
	v_and_b32_e32 v16, v16, v24
	v_xor_b32_e32 v15, vcc_hi, v6
	v_xor_b32_e32 v6, vcc_lo, v6
	v_and_b32_e32 v16, v16, v15
	v_and_b32_e32 v15, v23, v6
	v_mbcnt_lo_u32_b32 v6, v15, 0
	v_mbcnt_hi_u32_b32 v23, v16, v6
	v_cmp_ne_u64_e32 vcc, 0, v[15:16]
	v_cmp_eq_u32_e64 s[0:1], 0, v23
	s_and_b64 s[2:3], vcc, s[0:1]
	s_and_saveexec_b64 s[0:1], s[2:3]
; %bb.98:
	v_bcnt_u32_b32 v6, v15, 0
	v_bcnt_u32_b32 v6, v16, v6
	ds_write_b32 v22, v6 offset:32
; %bb.99:
	s_or_b64 exec, exec, s[0:1]
	v_not_b32_e32 v4, v4
	v_not_b32_e32 v3, v3
	v_lshrrev_b64 v[15:16], s48, v[3:4]
	v_and_b32_e32 v15, s14, v15
	v_mul_lo_u32 v6, v15, 36
	v_and_b32_e32 v16, 1, v15
	; wave barrier
	v_lshl_add_u32 v25, v28, 2, v6
	v_add_co_u32_e32 v6, vcc, -1, v16
	v_addc_co_u32_e64 v26, s[0:1], 0, -1, vcc
	v_cmp_ne_u32_e32 vcc, 0, v16
	v_xor_b32_e32 v6, vcc_lo, v6
	v_xor_b32_e32 v16, vcc_hi, v26
	v_and_b32_e32 v26, exec_lo, v6
	v_lshlrev_b32_e32 v6, 30, v15
	v_cmp_gt_i64_e32 vcc, 0, v[5:6]
	v_not_b32_e32 v6, v6
	v_ashrrev_i32_e32 v6, 31, v6
	v_xor_b32_e32 v27, vcc_hi, v6
	v_xor_b32_e32 v6, vcc_lo, v6
	v_and_b32_e32 v26, v26, v6
	v_lshlrev_b32_e32 v6, 29, v15
	v_cmp_gt_i64_e32 vcc, 0, v[5:6]
	v_not_b32_e32 v6, v6
	v_and_b32_e32 v16, exec_hi, v16
	v_ashrrev_i32_e32 v6, 31, v6
	v_and_b32_e32 v16, v16, v27
	v_xor_b32_e32 v27, vcc_hi, v6
	v_xor_b32_e32 v6, vcc_lo, v6
	v_and_b32_e32 v26, v26, v6
	v_lshlrev_b32_e32 v6, 28, v15
	v_cmp_gt_i64_e32 vcc, 0, v[5:6]
	v_not_b32_e32 v6, v6
	v_ashrrev_i32_e32 v6, 31, v6
	v_and_b32_e32 v16, v16, v27
	v_xor_b32_e32 v27, vcc_hi, v6
	v_xor_b32_e32 v6, vcc_lo, v6
	v_and_b32_e32 v26, v26, v6
	v_lshlrev_b32_e32 v6, 27, v15
	v_cmp_gt_i64_e32 vcc, 0, v[5:6]
	v_not_b32_e32 v6, v6
	;; [unrolled: 8-line block ×5, first 2 shown]
	v_ashrrev_i32_e32 v5, 31, v5
	v_xor_b32_e32 v6, vcc_hi, v5
	v_xor_b32_e32 v5, vcc_lo, v5
	ds_read_b32 v24, v25 offset:32
	v_and_b32_e32 v16, v16, v27
	v_and_b32_e32 v5, v26, v5
	;; [unrolled: 1-line block ×3, first 2 shown]
	v_mbcnt_lo_u32_b32 v15, v5, 0
	v_mbcnt_hi_u32_b32 v26, v6, v15
	v_cmp_ne_u64_e32 vcc, 0, v[5:6]
	v_cmp_eq_u32_e64 s[0:1], 0, v26
	s_and_b64 s[2:3], vcc, s[0:1]
	; wave barrier
	s_and_saveexec_b64 s[0:1], s[2:3]
	s_cbranch_execz .LBB14_101
; %bb.100:
	v_bcnt_u32_b32 v5, v5, 0
	v_bcnt_u32_b32 v5, v6, v5
	s_waitcnt lgkmcnt(0)
	v_add_u32_e32 v5, v24, v5
	ds_write_b32 v25, v5 offset:32
.LBB14_101:
	s_or_b64 exec, exec, s[0:1]
	v_not_b32_e32 v6, v14
	v_not_b32_e32 v5, v13
	v_lshrrev_b64 v[13:14], s48, v[5:6]
	v_and_b32_e32 v15, s14, v13
	v_mul_lo_u32 v13, v15, 36
	v_and_b32_e32 v14, 1, v15
	v_add_co_u32_e32 v16, vcc, -1, v14
	v_addc_co_u32_e64 v30, s[0:1], 0, -1, vcc
	v_cmp_ne_u32_e32 vcc, 0, v14
	v_xor_b32_e32 v14, vcc_hi, v30
	v_lshl_add_u32 v29, v28, 2, v13
	v_mov_b32_e32 v13, 0
	v_and_b32_e32 v30, exec_hi, v14
	v_lshlrev_b32_e32 v14, 30, v15
	v_xor_b32_e32 v16, vcc_lo, v16
	v_cmp_gt_i64_e32 vcc, 0, v[13:14]
	v_not_b32_e32 v14, v14
	v_ashrrev_i32_e32 v14, 31, v14
	v_and_b32_e32 v16, exec_lo, v16
	v_xor_b32_e32 v31, vcc_hi, v14
	v_xor_b32_e32 v14, vcc_lo, v14
	v_and_b32_e32 v16, v16, v14
	v_lshlrev_b32_e32 v14, 29, v15
	v_cmp_gt_i64_e32 vcc, 0, v[13:14]
	v_not_b32_e32 v14, v14
	v_ashrrev_i32_e32 v14, 31, v14
	v_and_b32_e32 v30, v30, v31
	v_xor_b32_e32 v31, vcc_hi, v14
	v_xor_b32_e32 v14, vcc_lo, v14
	v_and_b32_e32 v16, v16, v14
	v_lshlrev_b32_e32 v14, 28, v15
	v_cmp_gt_i64_e32 vcc, 0, v[13:14]
	v_not_b32_e32 v14, v14
	v_ashrrev_i32_e32 v14, 31, v14
	v_and_b32_e32 v30, v30, v31
	;; [unrolled: 8-line block ×5, first 2 shown]
	v_xor_b32_e32 v31, vcc_hi, v14
	v_xor_b32_e32 v14, vcc_lo, v14
	v_and_b32_e32 v16, v16, v14
	v_lshlrev_b32_e32 v14, 24, v15
	v_cmp_gt_i64_e32 vcc, 0, v[13:14]
	v_not_b32_e32 v14, v14
	v_ashrrev_i32_e32 v14, 31, v14
	v_xor_b32_e32 v15, vcc_hi, v14
	v_xor_b32_e32 v14, vcc_lo, v14
	; wave barrier
	ds_read_b32 v27, v29 offset:32
	v_and_b32_e32 v30, v30, v31
	v_and_b32_e32 v14, v16, v14
	;; [unrolled: 1-line block ×3, first 2 shown]
	v_mbcnt_lo_u32_b32 v16, v14, 0
	v_mbcnt_hi_u32_b32 v30, v15, v16
	v_cmp_ne_u64_e32 vcc, 0, v[14:15]
	v_cmp_eq_u32_e64 s[0:1], 0, v30
	s_and_b64 s[2:3], vcc, s[0:1]
	; wave barrier
	s_and_saveexec_b64 s[0:1], s[2:3]
	s_cbranch_execz .LBB14_103
; %bb.102:
	v_bcnt_u32_b32 v14, v14, 0
	v_bcnt_u32_b32 v14, v15, v14
	s_waitcnt lgkmcnt(0)
	v_add_u32_e32 v14, v27, v14
	ds_write_b32 v29, v14 offset:32
.LBB14_103:
	s_or_b64 exec, exec, s[0:1]
	v_not_b32_e32 v10, v10
	v_not_b32_e32 v9, v9
	v_lshrrev_b64 v[14:15], s48, v[9:10]
	v_and_b32_e32 v15, s14, v14
	v_mul_lo_u32 v14, v15, 36
	v_and_b32_e32 v16, 1, v15
	; wave barrier
	v_lshl_add_u32 v32, v28, 2, v14
	v_add_co_u32_e32 v14, vcc, -1, v16
	v_addc_co_u32_e64 v33, s[0:1], 0, -1, vcc
	v_cmp_ne_u32_e32 vcc, 0, v16
	v_xor_b32_e32 v14, vcc_lo, v14
	v_xor_b32_e32 v16, vcc_hi, v33
	v_and_b32_e32 v33, exec_lo, v14
	v_lshlrev_b32_e32 v14, 30, v15
	v_cmp_gt_i64_e32 vcc, 0, v[13:14]
	v_not_b32_e32 v14, v14
	v_ashrrev_i32_e32 v14, 31, v14
	v_xor_b32_e32 v34, vcc_hi, v14
	v_xor_b32_e32 v14, vcc_lo, v14
	v_and_b32_e32 v33, v33, v14
	v_lshlrev_b32_e32 v14, 29, v15
	v_cmp_gt_i64_e32 vcc, 0, v[13:14]
	v_not_b32_e32 v14, v14
	v_and_b32_e32 v16, exec_hi, v16
	v_ashrrev_i32_e32 v14, 31, v14
	v_and_b32_e32 v16, v16, v34
	v_xor_b32_e32 v34, vcc_hi, v14
	v_xor_b32_e32 v14, vcc_lo, v14
	v_and_b32_e32 v33, v33, v14
	v_lshlrev_b32_e32 v14, 28, v15
	v_cmp_gt_i64_e32 vcc, 0, v[13:14]
	v_not_b32_e32 v14, v14
	v_ashrrev_i32_e32 v14, 31, v14
	v_and_b32_e32 v16, v16, v34
	v_xor_b32_e32 v34, vcc_hi, v14
	v_xor_b32_e32 v14, vcc_lo, v14
	v_and_b32_e32 v33, v33, v14
	v_lshlrev_b32_e32 v14, 27, v15
	v_cmp_gt_i64_e32 vcc, 0, v[13:14]
	v_not_b32_e32 v14, v14
	;; [unrolled: 8-line block ×5, first 2 shown]
	v_ashrrev_i32_e32 v13, 31, v13
	v_xor_b32_e32 v14, vcc_hi, v13
	v_xor_b32_e32 v13, vcc_lo, v13
	ds_read_b32 v31, v32 offset:32
	v_and_b32_e32 v16, v16, v34
	v_and_b32_e32 v13, v33, v13
	;; [unrolled: 1-line block ×3, first 2 shown]
	v_mbcnt_lo_u32_b32 v15, v13, 0
	v_mbcnt_hi_u32_b32 v33, v14, v15
	v_cmp_ne_u64_e32 vcc, 0, v[13:14]
	v_cmp_eq_u32_e64 s[0:1], 0, v33
	s_and_b64 s[2:3], vcc, s[0:1]
	; wave barrier
	s_and_saveexec_b64 s[0:1], s[2:3]
	s_cbranch_execz .LBB14_105
; %bb.104:
	v_bcnt_u32_b32 v13, v13, 0
	v_bcnt_u32_b32 v13, v14, v13
	s_waitcnt lgkmcnt(0)
	v_add_u32_e32 v13, v31, v13
	ds_write_b32 v32, v13 offset:32
.LBB14_105:
	s_or_b64 exec, exec, s[0:1]
	v_not_b32_e32 v12, v12
	v_not_b32_e32 v11, v11
	v_lshrrev_b64 v[13:14], s48, v[11:12]
	v_mov_b32_e32 v15, 0
	v_and_b32_e32 v13, s14, v13
	v_mul_lo_u32 v14, v13, 36
	v_and_b32_e32 v16, 1, v13
	; wave barrier
	v_lshl_add_u32 v35, v28, 2, v14
	v_add_co_u32_e32 v14, vcc, -1, v16
	v_addc_co_u32_e64 v36, s[0:1], 0, -1, vcc
	v_cmp_ne_u32_e32 vcc, 0, v16
	v_xor_b32_e32 v16, vcc_hi, v36
	v_and_b32_e32 v36, exec_hi, v16
	v_lshlrev_b32_e32 v16, 30, v13
	v_xor_b32_e32 v14, vcc_lo, v14
	v_cmp_gt_i64_e32 vcc, 0, v[15:16]
	v_not_b32_e32 v16, v16
	v_ashrrev_i32_e32 v16, 31, v16
	v_and_b32_e32 v14, exec_lo, v14
	v_xor_b32_e32 v37, vcc_hi, v16
	v_xor_b32_e32 v16, vcc_lo, v16
	v_and_b32_e32 v14, v14, v16
	v_lshlrev_b32_e32 v16, 29, v13
	v_cmp_gt_i64_e32 vcc, 0, v[15:16]
	v_not_b32_e32 v16, v16
	v_ashrrev_i32_e32 v16, 31, v16
	v_and_b32_e32 v36, v36, v37
	v_xor_b32_e32 v37, vcc_hi, v16
	v_xor_b32_e32 v16, vcc_lo, v16
	v_and_b32_e32 v14, v14, v16
	v_lshlrev_b32_e32 v16, 28, v13
	v_cmp_gt_i64_e32 vcc, 0, v[15:16]
	v_not_b32_e32 v16, v16
	v_ashrrev_i32_e32 v16, 31, v16
	v_and_b32_e32 v36, v36, v37
	;; [unrolled: 8-line block ×5, first 2 shown]
	v_xor_b32_e32 v37, vcc_hi, v16
	v_xor_b32_e32 v16, vcc_lo, v16
	v_and_b32_e32 v36, v36, v37
	v_and_b32_e32 v37, v14, v16
	v_lshlrev_b32_e32 v16, 24, v13
	v_cmp_gt_i64_e32 vcc, 0, v[15:16]
	v_not_b32_e32 v13, v16
	v_ashrrev_i32_e32 v13, 31, v13
	v_xor_b32_e32 v14, vcc_hi, v13
	v_xor_b32_e32 v13, vcc_lo, v13
	ds_read_b32 v34, v35 offset:32
	v_and_b32_e32 v13, v37, v13
	v_and_b32_e32 v14, v36, v14
	v_mbcnt_lo_u32_b32 v16, v13, 0
	v_mbcnt_hi_u32_b32 v36, v14, v16
	v_cmp_ne_u64_e32 vcc, 0, v[13:14]
	v_cmp_eq_u32_e64 s[0:1], 0, v36
	s_and_b64 s[2:3], vcc, s[0:1]
	; wave barrier
	s_and_saveexec_b64 s[0:1], s[2:3]
	s_cbranch_execz .LBB14_107
; %bb.106:
	v_bcnt_u32_b32 v13, v13, 0
	v_bcnt_u32_b32 v13, v14, v13
	s_waitcnt lgkmcnt(0)
	v_add_u32_e32 v13, v34, v13
	ds_write_b32 v35, v13 offset:32
.LBB14_107:
	s_or_b64 exec, exec, s[0:1]
	v_not_b32_e32 v14, v8
	v_not_b32_e32 v13, v7
	v_lshrrev_b64 v[7:8], s48, v[13:14]
	v_and_b32_e32 v7, s14, v7
	v_mul_lo_u32 v8, v7, 36
	v_and_b32_e32 v16, 1, v7
	; wave barrier
	v_lshl_add_u32 v37, v28, 2, v8
	v_add_co_u32_e32 v8, vcc, -1, v16
	v_addc_co_u32_e64 v38, s[0:1], 0, -1, vcc
	v_cmp_ne_u32_e32 vcc, 0, v16
	v_xor_b32_e32 v16, vcc_hi, v38
	v_and_b32_e32 v38, exec_hi, v16
	v_lshlrev_b32_e32 v16, 30, v7
	v_xor_b32_e32 v8, vcc_lo, v8
	v_cmp_gt_i64_e32 vcc, 0, v[15:16]
	v_not_b32_e32 v16, v16
	v_ashrrev_i32_e32 v16, 31, v16
	v_and_b32_e32 v8, exec_lo, v8
	v_xor_b32_e32 v39, vcc_hi, v16
	v_xor_b32_e32 v16, vcc_lo, v16
	v_and_b32_e32 v8, v8, v16
	v_lshlrev_b32_e32 v16, 29, v7
	v_cmp_gt_i64_e32 vcc, 0, v[15:16]
	v_not_b32_e32 v16, v16
	v_ashrrev_i32_e32 v16, 31, v16
	v_and_b32_e32 v38, v38, v39
	v_xor_b32_e32 v39, vcc_hi, v16
	v_xor_b32_e32 v16, vcc_lo, v16
	v_and_b32_e32 v8, v8, v16
	v_lshlrev_b32_e32 v16, 28, v7
	v_cmp_gt_i64_e32 vcc, 0, v[15:16]
	v_not_b32_e32 v16, v16
	v_ashrrev_i32_e32 v16, 31, v16
	v_and_b32_e32 v38, v38, v39
	v_xor_b32_e32 v39, vcc_hi, v16
	v_xor_b32_e32 v16, vcc_lo, v16
	v_and_b32_e32 v8, v8, v16
	v_lshlrev_b32_e32 v16, 27, v7
	v_cmp_gt_i64_e32 vcc, 0, v[15:16]
	v_not_b32_e32 v16, v16
	v_ashrrev_i32_e32 v16, 31, v16
	v_and_b32_e32 v38, v38, v39
	v_xor_b32_e32 v39, vcc_hi, v16
	v_xor_b32_e32 v16, vcc_lo, v16
	v_and_b32_e32 v8, v8, v16
	v_lshlrev_b32_e32 v16, 26, v7
	v_cmp_gt_i64_e32 vcc, 0, v[15:16]
	v_not_b32_e32 v16, v16
	v_ashrrev_i32_e32 v16, 31, v16
	v_and_b32_e32 v38, v38, v39
	v_xor_b32_e32 v39, vcc_hi, v16
	v_xor_b32_e32 v16, vcc_lo, v16
	v_and_b32_e32 v8, v8, v16
	v_lshlrev_b32_e32 v16, 25, v7
	v_cmp_gt_i64_e32 vcc, 0, v[15:16]
	v_not_b32_e32 v16, v16
	v_ashrrev_i32_e32 v16, 31, v16
	v_and_b32_e32 v38, v38, v39
	v_xor_b32_e32 v39, vcc_hi, v16
	v_xor_b32_e32 v16, vcc_lo, v16
	v_and_b32_e32 v38, v38, v39
	v_and_b32_e32 v39, v8, v16
	v_lshlrev_b32_e32 v16, 24, v7
	v_cmp_gt_i64_e32 vcc, 0, v[15:16]
	v_not_b32_e32 v7, v16
	v_ashrrev_i32_e32 v7, 31, v7
	v_xor_b32_e32 v8, vcc_hi, v7
	v_xor_b32_e32 v7, vcc_lo, v7
	ds_read_b32 v28, v37 offset:32
	v_and_b32_e32 v7, v39, v7
	v_and_b32_e32 v8, v38, v8
	v_mbcnt_lo_u32_b32 v15, v7, 0
	v_mbcnt_hi_u32_b32 v38, v8, v15
	v_cmp_ne_u64_e32 vcc, 0, v[7:8]
	v_cmp_eq_u32_e64 s[0:1], 0, v38
	s_and_b64 s[2:3], vcc, s[0:1]
	; wave barrier
	s_and_saveexec_b64 s[0:1], s[2:3]
	s_cbranch_execz .LBB14_109
; %bb.108:
	v_bcnt_u32_b32 v7, v7, 0
	v_bcnt_u32_b32 v7, v8, v7
	s_waitcnt lgkmcnt(0)
	v_add_u32_e32 v7, v28, v7
	ds_write_b32 v37, v7 offset:32
.LBB14_109:
	s_or_b64 exec, exec, s[0:1]
	; wave barrier
	s_waitcnt lgkmcnt(0)
	s_barrier
	ds_read2_b32 v[15:16], v20 offset0:8 offset1:9
	ds_read2_b32 v[7:8], v20 offset0:10 offset1:11
	ds_read_b32 v39, v20 offset:48
	v_min_u32_e32 v21, 0x1c0, v21
	v_or_b32_e32 v21, 63, v21
	s_waitcnt lgkmcnt(1)
	v_add3_u32 v40, v16, v15, v7
	s_waitcnt lgkmcnt(0)
	v_add3_u32 v39, v40, v8, v39
	v_and_b32_e32 v40, 15, v19
	v_cmp_ne_u32_e32 vcc, 0, v40
	v_mov_b32_dpp v41, v39 row_shr:1 row_mask:0xf bank_mask:0xf
	v_cndmask_b32_e32 v41, 0, v41, vcc
	v_add_u32_e32 v39, v41, v39
	v_cmp_lt_u32_e32 vcc, 1, v40
	s_nop 0
	v_mov_b32_dpp v41, v39 row_shr:2 row_mask:0xf bank_mask:0xf
	v_cndmask_b32_e32 v41, 0, v41, vcc
	v_add_u32_e32 v39, v39, v41
	v_cmp_lt_u32_e32 vcc, 3, v40
	s_nop 0
	;; [unrolled: 5-line block ×3, first 2 shown]
	v_mov_b32_dpp v41, v39 row_shr:8 row_mask:0xf bank_mask:0xf
	v_cndmask_b32_e32 v40, 0, v41, vcc
	v_add_u32_e32 v39, v39, v40
	v_bfe_i32 v41, v19, 4, 1
	v_cmp_lt_u32_e32 vcc, 31, v19
	v_mov_b32_dpp v40, v39 row_bcast:15 row_mask:0xf bank_mask:0xf
	v_and_b32_e32 v40, v41, v40
	v_add_u32_e32 v39, v39, v40
	s_nop 1
	v_mov_b32_dpp v40, v39 row_bcast:31 row_mask:0xf bank_mask:0xf
	v_cndmask_b32_e32 v40, 0, v40, vcc
	v_add_u32_e32 v39, v39, v40
	v_lshrrev_b32_e32 v40, 6, v0
	v_cmp_eq_u32_e32 vcc, v0, v21
	s_and_saveexec_b64 s[0:1], vcc
; %bb.110:
	v_lshlrev_b32_e32 v21, 2, v40
	ds_write_b32 v21, v39
; %bb.111:
	s_or_b64 exec, exec, s[0:1]
	v_cmp_gt_u32_e32 vcc, 8, v0
	s_waitcnt lgkmcnt(0)
	s_barrier
	s_and_saveexec_b64 s[0:1], vcc
	s_cbranch_execz .LBB14_113
; %bb.112:
	v_lshlrev_b32_e32 v21, 2, v0
	ds_read_b32 v41, v21
	v_and_b32_e32 v42, 7, v19
	v_cmp_ne_u32_e32 vcc, 0, v42
	s_waitcnt lgkmcnt(0)
	v_mov_b32_dpp v43, v41 row_shr:1 row_mask:0xf bank_mask:0xf
	v_cndmask_b32_e32 v43, 0, v43, vcc
	v_add_u32_e32 v41, v43, v41
	v_cmp_lt_u32_e32 vcc, 1, v42
	s_nop 0
	v_mov_b32_dpp v43, v41 row_shr:2 row_mask:0xf bank_mask:0xf
	v_cndmask_b32_e32 v43, 0, v43, vcc
	v_add_u32_e32 v41, v41, v43
	v_cmp_lt_u32_e32 vcc, 3, v42
	s_nop 0
	v_mov_b32_dpp v43, v41 row_shr:4 row_mask:0xf bank_mask:0xf
	v_cndmask_b32_e32 v42, 0, v43, vcc
	v_add_u32_e32 v41, v41, v42
	ds_write_b32 v21, v41
.LBB14_113:
	s_or_b64 exec, exec, s[0:1]
	v_cmp_lt_u32_e32 vcc, 63, v0
	v_mov_b32_e32 v21, 0
	s_waitcnt lgkmcnt(0)
	s_barrier
	s_and_saveexec_b64 s[0:1], vcc
; %bb.114:
	v_lshl_add_u32 v21, v40, 2, -4
	ds_read_b32 v21, v21
; %bb.115:
	s_or_b64 exec, exec, s[0:1]
	v_add_u32_e32 v40, -1, v19
	v_and_b32_e32 v41, 64, v19
	v_cmp_lt_i32_e32 vcc, v40, v41
	v_cndmask_b32_e32 v40, v40, v19, vcc
	s_waitcnt lgkmcnt(0)
	v_add_u32_e32 v39, v21, v39
	v_lshlrev_b32_e32 v40, 2, v40
	ds_bpermute_b32 v39, v40, v39
	v_cmp_eq_u32_e32 vcc, 0, v19
	s_movk_i32 s0, 0xff
	s_movk_i32 s2, 0x100
	s_waitcnt lgkmcnt(0)
	v_cndmask_b32_e32 v19, v39, v21, vcc
	v_cmp_ne_u32_e32 vcc, 0, v0
	v_cndmask_b32_e32 v19, 0, v19, vcc
	v_add_u32_e32 v15, v19, v15
	v_add_u32_e32 v16, v15, v16
	;; [unrolled: 1-line block ×4, first 2 shown]
	ds_write2_b32 v20, v19, v15 offset0:8 offset1:9
	ds_write2_b32 v20, v16, v7 offset0:10 offset1:11
	ds_write_b32 v20, v8 offset:48
	s_waitcnt lgkmcnt(0)
	s_barrier
	ds_read_b32 v16, v22 offset:32
	ds_read_b32 v19, v25 offset:32
	;; [unrolled: 1-line block ×6, first 2 shown]
	v_mov_b32_e32 v7, 0
	v_cmp_lt_u32_e32 vcc, s0, v0
	v_mov_b32_e32 v8, 0
	v_cmp_gt_u32_e64 s[0:1], s2, v0
                                        ; implicit-def: $vgpr15
	s_and_saveexec_b64 s[4:5], s[0:1]
	s_cbranch_execz .LBB14_119
; %bb.116:
	v_mul_u32_u24_e32 v7, 36, v0
	ds_read_b32 v7, v7 offset:32
	v_add_u32_e32 v15, 1, v0
	v_cmp_ne_u32_e64 s[2:3], s2, v15
	v_mov_b32_e32 v8, 0xc00
	s_and_saveexec_b64 s[10:11], s[2:3]
; %bb.117:
	v_mul_u32_u24_e32 v8, 36, v15
	ds_read_b32 v8, v8 offset:32
; %bb.118:
	s_or_b64 exec, exec, s[10:11]
	s_waitcnt lgkmcnt(0)
	v_sub_u32_e32 v15, v8, v7
	v_mov_b32_e32 v8, 0
.LBB14_119:
	s_or_b64 exec, exec, s[4:5]
	v_lshlrev_b32_e32 v23, 3, v23
	s_waitcnt lgkmcnt(5)
	v_lshl_add_u32 v16, v16, 3, v23
	s_waitcnt lgkmcnt(0)
	s_barrier
	ds_write_b64 v16, v[1:2] offset:2048
	v_lshlrev_b32_e32 v1, 3, v26
	v_lshlrev_b32_e32 v2, 3, v24
	v_lshlrev_b32_e32 v19, 3, v19
	v_add3_u32 v19, v1, v2, v19
	ds_write_b64 v19, v[3:4] offset:2048
	v_lshlrev_b32_e32 v1, 3, v30
	v_lshlrev_b32_e32 v2, 3, v27
	;; [unrolled: 1-line block ×3, first 2 shown]
	v_add3_u32 v20, v1, v2, v3
	v_lshlrev_b32_e32 v1, 3, v33
	v_lshlrev_b32_e32 v2, 3, v31
	;; [unrolled: 1-line block ×3, first 2 shown]
	v_add3_u32 v21, v1, v2, v3
	v_lshlrev_b32_e32 v1, 3, v36
	v_lshlrev_b32_e32 v2, 3, v34
	;; [unrolled: 1-line block ×3, first 2 shown]
	ds_write_b64 v20, v[5:6] offset:2048
	ds_write_b64 v21, v[9:10] offset:2048
	v_add3_u32 v10, v1, v2, v3
	v_lshlrev_b32_e32 v1, 3, v38
	v_lshlrev_b32_e32 v2, 3, v28
	v_lshlrev_b32_e32 v3, 3, v22
	ds_write_b64 v10, v[11:12] offset:2048
	v_add3_u32 v11, v1, v2, v3
	v_mov_b32_e32 v2, 0
	v_lshlrev_b32_e32 v9, 3, v0
	ds_write_b64 v11, v[13:14] offset:2048
	s_waitcnt lgkmcnt(0)
	s_barrier
	s_and_saveexec_b64 s[2:3], s[0:1]
	s_cbranch_execz .LBB14_129
; %bb.120:
	v_lshl_add_u32 v1, s6, 8, v0
	v_lshlrev_b64 v[3:4], 2, v[1:2]
	v_mov_b32_e32 v12, s31
	v_add_co_u32_e64 v3, s[0:1], s30, v3
	v_addc_co_u32_e64 v4, s[0:1], v12, v4, s[0:1]
	v_or_b32_e32 v1, 2.0, v15
	s_mov_b64 s[4:5], 0
	s_brev_b32 s15, -4
	s_mov_b32 s16, s6
	v_mov_b32_e32 v13, 0
	global_store_dword v[3:4], v1, off
                                        ; implicit-def: $sgpr0_sgpr1
	s_branch .LBB14_123
.LBB14_121:                             ;   in Loop: Header=BB14_123 Depth=1
	s_or_b64 exec, exec, s[12:13]
.LBB14_122:                             ;   in Loop: Header=BB14_123 Depth=1
	s_or_b64 exec, exec, s[10:11]
	v_and_b32_e32 v5, 0x3fffffff, v1
	v_add_u32_e32 v13, v5, v13
	v_cmp_gt_i32_e64 s[0:1], -2.0, v1
	s_and_b64 s[10:11], exec, s[0:1]
	s_or_b64 s[4:5], s[10:11], s[4:5]
	s_andn2_b64 exec, exec, s[4:5]
	s_cbranch_execz .LBB14_128
.LBB14_123:                             ; =>This Loop Header: Depth=1
                                        ;     Child Loop BB14_126 Depth 2
	s_or_b64 s[0:1], s[0:1], exec
	s_cmp_eq_u32 s16, 0
	s_cbranch_scc1 .LBB14_127
; %bb.124:                              ;   in Loop: Header=BB14_123 Depth=1
	s_add_i32 s16, s16, -1
	v_lshl_or_b32 v1, s16, 8, v0
	v_lshlrev_b64 v[5:6], 2, v[1:2]
	v_add_co_u32_e64 v5, s[0:1], s30, v5
	v_addc_co_u32_e64 v6, s[0:1], v12, v6, s[0:1]
	global_load_dword v1, v[5:6], off glc
	s_waitcnt vmcnt(0)
	v_cmp_gt_u32_e64 s[0:1], 2.0, v1
	s_and_saveexec_b64 s[10:11], s[0:1]
	s_cbranch_execz .LBB14_122
; %bb.125:                              ;   in Loop: Header=BB14_123 Depth=1
	s_mov_b64 s[12:13], 0
.LBB14_126:                             ;   Parent Loop BB14_123 Depth=1
                                        ; =>  This Inner Loop Header: Depth=2
	global_load_dword v1, v[5:6], off glc
	s_waitcnt vmcnt(0)
	v_cmp_lt_u32_e64 s[0:1], s15, v1
	s_or_b64 s[12:13], s[0:1], s[12:13]
	s_andn2_b64 exec, exec, s[12:13]
	s_cbranch_execnz .LBB14_126
	s_branch .LBB14_121
.LBB14_127:                             ;   in Loop: Header=BB14_123 Depth=1
                                        ; implicit-def: $sgpr16
	s_and_b64 s[10:11], exec, s[0:1]
	s_or_b64 s[4:5], s[10:11], s[4:5]
	s_andn2_b64 exec, exec, s[4:5]
	s_cbranch_execnz .LBB14_123
.LBB14_128:
	s_or_b64 exec, exec, s[4:5]
	v_add_u32_e32 v0, v13, v15
	v_or_b32_e32 v0, 0x80000000, v0
	global_store_dword v[3:4], v0, off
	global_load_dwordx2 v[0:1], v9, s[44:45]
	v_sub_co_u32_e64 v2, s[0:1], v13, v7
	v_subb_co_u32_e64 v3, s[0:1], 0, v8, s[0:1]
	s_waitcnt vmcnt(0)
	v_add_co_u32_e64 v0, s[0:1], v2, v0
	v_addc_co_u32_e64 v1, s[0:1], v3, v1, s[0:1]
	ds_write_b64 v9, v[0:1]
.LBB14_129:
	s_or_b64 exec, exec, s[2:3]
	s_waitcnt lgkmcnt(0)
	s_barrier
	ds_read2st64_b64 v[0:3], v9 offset0:4 offset1:12
	ds_read2st64_b64 v[22:25], v9 offset0:20 offset1:28
	v_or_b32_e32 v33, 0x4000, v9
	v_or_b32_e32 v34, 0x5000, v9
	s_waitcnt lgkmcnt(1)
	v_lshrrev_b64 v[4:5], s48, v[0:1]
	s_waitcnt lgkmcnt(0)
	v_lshrrev_b64 v[12:13], s48, v[22:23]
	v_and_b32_e32 v4, s14, v4
	v_lshlrev_b32_e32 v14, 3, v4
	v_lshrrev_b64 v[4:5], s48, v[2:3]
	ds_read_b64 v[5:6], v14
	v_and_b32_e32 v4, s14, v4
	v_lshlrev_b32_e32 v30, 3, v4
	v_and_b32_e32 v4, s14, v12
	v_lshrrev_b64 v[12:13], s48, v[24:25]
	v_lshlrev_b32_e32 v31, 3, v4
	v_and_b32_e32 v4, s14, v12
	v_lshlrev_b32_e32 v32, 3, v4
	s_waitcnt lgkmcnt(0)
	v_lshlrev_b64 v[4:5], 3, v[5:6]
	v_mov_b32_e32 v6, s39
	v_add_co_u32_e64 v4, s[0:1], s38, v4
	ds_read_b64 v[12:13], v30
	ds_read_b64 v[26:27], v31
	ds_read_b64 v[28:29], v32
	v_addc_co_u32_e64 v5, s[0:1], v6, v5, s[0:1]
	v_add_co_u32_e64 v4, s[0:1], v4, v9
	v_not_b32_e32 v1, v1
	v_not_b32_e32 v0, v0
	v_addc_co_u32_e64 v5, s[0:1], 0, v5, s[0:1]
	global_store_dwordx2 v[4:5], v[0:1], off
	v_not_b32_e32 v1, v3
	v_not_b32_e32 v0, v2
	s_waitcnt lgkmcnt(2)
	v_lshlrev_b64 v[2:3], 3, v[12:13]
	v_mov_b32_e32 v4, s39
	v_add_co_u32_e64 v2, s[0:1], s38, v2
	v_addc_co_u32_e64 v3, s[0:1], v4, v3, s[0:1]
	v_or_b32_e32 v6, 0x1000, v9
	v_add_co_u32_e64 v2, s[0:1], v2, v6
	v_addc_co_u32_e64 v3, s[0:1], 0, v3, s[0:1]
	global_store_dwordx2 v[2:3], v[0:1], off
	s_waitcnt lgkmcnt(1)
	v_lshlrev_b64 v[2:3], 3, v[26:27]
	v_or_b32_e32 v26, 0x2000, v9
	v_add_co_u32_e64 v2, s[0:1], s38, v2
	v_addc_co_u32_e64 v3, s[0:1], v4, v3, s[0:1]
	v_add_co_u32_e64 v2, s[0:1], v2, v26
	v_not_b32_e32 v1, v23
	v_not_b32_e32 v0, v22
	v_addc_co_u32_e64 v3, s[0:1], 0, v3, s[0:1]
	global_store_dwordx2 v[2:3], v[0:1], off
	s_waitcnt lgkmcnt(0)
	v_lshlrev_b64 v[0:1], 3, v[28:29]
	v_mov_b32_e32 v2, s39
	v_add_co_u32_e64 v12, s[0:1], s38, v0
	v_addc_co_u32_e64 v13, s[0:1], v2, v1, s[0:1]
	ds_read2st64_b64 v[0:3], v9 offset0:36 offset1:44
	v_or_b32_e32 v27, 0x3000, v9
	v_add_co_u32_e64 v12, s[0:1], v12, v27
	v_not_b32_e32 v5, v25
	s_waitcnt lgkmcnt(0)
	v_lshrrev_b64 v[22:23], s48, v[0:1]
	v_not_b32_e32 v4, v24
	v_addc_co_u32_e64 v13, s[0:1], 0, v13, s[0:1]
	global_store_dwordx2 v[12:13], v[4:5], off
	v_and_b32_e32 v4, s14, v22
	v_lshlrev_b32_e32 v28, 3, v4
	ds_read_b64 v[4:5], v28
	v_lshrrev_b64 v[12:13], s48, v[2:3]
	v_mov_b32_e32 v22, s39
	v_and_b32_e32 v12, s14, v12
	v_lshlrev_b32_e32 v29, 3, v12
	ds_read_b64 v[12:13], v29
	s_waitcnt lgkmcnt(1)
	v_lshlrev_b64 v[4:5], 3, v[4:5]
	v_not_b32_e32 v1, v1
	v_add_co_u32_e64 v4, s[0:1], s38, v4
	v_addc_co_u32_e64 v5, s[0:1], v22, v5, s[0:1]
	v_add_co_u32_e64 v4, s[0:1], v4, v33
	v_not_b32_e32 v0, v0
	v_addc_co_u32_e64 v5, s[0:1], 0, v5, s[0:1]
	global_store_dwordx2 v[4:5], v[0:1], off
	v_not_b32_e32 v1, v3
	v_not_b32_e32 v0, v2
	s_waitcnt lgkmcnt(0)
	v_lshlrev_b64 v[2:3], 3, v[12:13]
	v_mov_b32_e32 v4, s39
	v_add_co_u32_e64 v2, s[0:1], s38, v2
	v_addc_co_u32_e64 v3, s[0:1], v4, v3, s[0:1]
	v_add_co_u32_e64 v2, s[0:1], v2, v34
	v_addc_co_u32_e64 v3, s[0:1], 0, v3, s[0:1]
	s_add_u32 s0, s40, s8
	s_addc_u32 s1, s41, s9
	global_store_dwordx2 v[2:3], v[0:1], off
	v_mov_b32_e32 v0, s1
	v_add_co_u32_e64 v1, s[0:1], s0, v17
	v_addc_co_u32_e64 v2, s[0:1], 0, v0, s[0:1]
	v_add_co_u32_e64 v0, s[0:1], v1, v18
	v_addc_co_u32_e64 v1, s[0:1], 0, v2, s[0:1]
	global_load_dwordx2 v[2:3], v[0:1], off
	global_load_dwordx2 v[4:5], v[0:1], off offset:512
	global_load_dwordx2 v[12:13], v[0:1], off offset:1024
	;; [unrolled: 1-line block ×5, first 2 shown]
	s_waitcnt vmcnt(0)
	s_barrier
	s_add_i32 s7, s7, -1
	s_cmp_eq_u32 s6, s7
	ds_write_b64 v16, v[2:3] offset:2048
	ds_write_b64 v19, v[4:5] offset:2048
	;; [unrolled: 1-line block ×6, first 2 shown]
	s_waitcnt lgkmcnt(0)
	s_barrier
	ds_read_b64 v[4:5], v14
	ds_read2st64_b64 v[0:3], v9 offset0:4 offset1:12
	ds_read_b64 v[10:11], v30
	ds_read_b64 v[12:13], v31
	;; [unrolled: 1-line block ×3, first 2 shown]
	s_waitcnt lgkmcnt(4)
	v_lshlrev_b64 v[4:5], 3, v[4:5]
	v_mov_b32_e32 v14, s43
	v_add_co_u32_e64 v4, s[0:1], s42, v4
	v_addc_co_u32_e64 v5, s[0:1], v14, v5, s[0:1]
	v_add_co_u32_e64 v4, s[0:1], v4, v9
	v_addc_co_u32_e64 v5, s[0:1], 0, v5, s[0:1]
	s_waitcnt lgkmcnt(3)
	global_store_dwordx2 v[4:5], v[0:1], off
	s_waitcnt lgkmcnt(2)
	v_lshlrev_b64 v[0:1], 3, v[10:11]
	v_mov_b32_e32 v4, s43
	v_add_co_u32_e64 v0, s[0:1], s42, v0
	v_addc_co_u32_e64 v1, s[0:1], v4, v1, s[0:1]
	v_add_co_u32_e64 v0, s[0:1], v0, v6
	v_addc_co_u32_e64 v1, s[0:1], 0, v1, s[0:1]
	s_waitcnt lgkmcnt(1)
	v_lshlrev_b64 v[4:5], 3, v[12:13]
	global_store_dwordx2 v[0:1], v[2:3], off
	ds_read2st64_b64 v[0:3], v9 offset0:20 offset1:28
	v_mov_b32_e32 v6, s43
	v_add_co_u32_e64 v4, s[0:1], s42, v4
	v_addc_co_u32_e64 v5, s[0:1], v6, v5, s[0:1]
	v_add_co_u32_e64 v4, s[0:1], v4, v26
	v_addc_co_u32_e64 v5, s[0:1], 0, v5, s[0:1]
	s_waitcnt lgkmcnt(0)
	global_store_dwordx2 v[4:5], v[0:1], off
	v_lshlrev_b64 v[0:1], 3, v[16:17]
	v_mov_b32_e32 v4, s43
	v_add_co_u32_e64 v0, s[0:1], s42, v0
	v_addc_co_u32_e64 v1, s[0:1], v4, v1, s[0:1]
	ds_read_b64 v[4:5], v28
	v_add_co_u32_e64 v0, s[0:1], v0, v27
	v_addc_co_u32_e64 v1, s[0:1], 0, v1, s[0:1]
	global_store_dwordx2 v[0:1], v[2:3], off
	s_waitcnt lgkmcnt(0)
	v_lshlrev_b64 v[4:5], 3, v[4:5]
	ds_read2st64_b64 v[0:3], v9 offset0:36 offset1:44
	ds_read_b64 v[10:11], v29
	v_add_co_u32_e64 v4, s[0:1], s42, v4
	v_addc_co_u32_e64 v5, s[0:1], v6, v5, s[0:1]
	v_add_co_u32_e64 v4, s[0:1], v4, v33
	v_addc_co_u32_e64 v5, s[0:1], 0, v5, s[0:1]
	s_waitcnt lgkmcnt(1)
	global_store_dwordx2 v[4:5], v[0:1], off
	s_waitcnt lgkmcnt(0)
	v_lshlrev_b64 v[0:1], 3, v[10:11]
	v_mov_b32_e32 v4, s43
	v_add_co_u32_e64 v0, s[0:1], s42, v0
	v_addc_co_u32_e64 v1, s[0:1], v4, v1, s[0:1]
	v_add_co_u32_e64 v0, s[0:1], v0, v34
	v_addc_co_u32_e64 v1, s[0:1], 0, v1, s[0:1]
	s_cselect_b64 s[0:1], -1, 0
	s_xor_b64 s[2:3], vcc, -1
	s_and_b64 s[0:1], s[2:3], s[0:1]
	global_store_dwordx2 v[0:1], v[2:3], off
	s_and_saveexec_b64 s[2:3], s[0:1]
	s_cbranch_execz .LBB14_131
; %bb.130:
	ds_read_b64 v[0:1], v9
	v_add_co_u32_e32 v2, vcc, v7, v15
	v_addc_co_u32_e32 v3, vcc, 0, v8, vcc
	s_waitcnt lgkmcnt(0)
	v_add_co_u32_e32 v0, vcc, v2, v0
	v_addc_co_u32_e32 v1, vcc, v3, v1, vcc
	global_store_dwordx2 v9, v[0:1], s[46:47]
.LBB14_131:
	s_endpgm
	.section	.rodata,"a",@progbits
	.p2align	6, 0x0
	.amdhsa_kernel _ZN7rocprim17ROCPRIM_304000_NS6detail25onesweep_iteration_kernelINS1_34wrapped_radix_sort_onesweep_configINS0_14default_configEmN2at4cuda3cub6detail10OpaqueTypeILi8EEEEELb1EPKmPmPKSA_PSA_mNS0_19identity_decomposerEEEvT1_T2_T3_T4_jPT5_SO_PNS1_23onesweep_lookback_stateET6_jjj
		.amdhsa_group_segment_fixed_size 26624
		.amdhsa_private_segment_fixed_size 0
		.amdhsa_kernarg_size 336
		.amdhsa_user_sgpr_count 6
		.amdhsa_user_sgpr_private_segment_buffer 1
		.amdhsa_user_sgpr_dispatch_ptr 0
		.amdhsa_user_sgpr_queue_ptr 0
		.amdhsa_user_sgpr_kernarg_segment_ptr 1
		.amdhsa_user_sgpr_dispatch_id 0
		.amdhsa_user_sgpr_flat_scratch_init 0
		.amdhsa_user_sgpr_private_segment_size 0
		.amdhsa_uses_dynamic_stack 0
		.amdhsa_system_sgpr_private_segment_wavefront_offset 0
		.amdhsa_system_sgpr_workgroup_id_x 1
		.amdhsa_system_sgpr_workgroup_id_y 0
		.amdhsa_system_sgpr_workgroup_id_z 0
		.amdhsa_system_sgpr_workgroup_info 0
		.amdhsa_system_vgpr_workitem_id 2
		.amdhsa_next_free_vgpr 49
		.amdhsa_next_free_sgpr 98
		.amdhsa_reserve_vcc 1
		.amdhsa_reserve_flat_scratch 0
		.amdhsa_float_round_mode_32 0
		.amdhsa_float_round_mode_16_64 0
		.amdhsa_float_denorm_mode_32 3
		.amdhsa_float_denorm_mode_16_64 3
		.amdhsa_dx10_clamp 1
		.amdhsa_ieee_mode 1
		.amdhsa_fp16_overflow 0
		.amdhsa_exception_fp_ieee_invalid_op 0
		.amdhsa_exception_fp_denorm_src 0
		.amdhsa_exception_fp_ieee_div_zero 0
		.amdhsa_exception_fp_ieee_overflow 0
		.amdhsa_exception_fp_ieee_underflow 0
		.amdhsa_exception_fp_ieee_inexact 0
		.amdhsa_exception_int_div_zero 0
	.end_amdhsa_kernel
	.section	.text._ZN7rocprim17ROCPRIM_304000_NS6detail25onesweep_iteration_kernelINS1_34wrapped_radix_sort_onesweep_configINS0_14default_configEmN2at4cuda3cub6detail10OpaqueTypeILi8EEEEELb1EPKmPmPKSA_PSA_mNS0_19identity_decomposerEEEvT1_T2_T3_T4_jPT5_SO_PNS1_23onesweep_lookback_stateET6_jjj,"axG",@progbits,_ZN7rocprim17ROCPRIM_304000_NS6detail25onesweep_iteration_kernelINS1_34wrapped_radix_sort_onesweep_configINS0_14default_configEmN2at4cuda3cub6detail10OpaqueTypeILi8EEEEELb1EPKmPmPKSA_PSA_mNS0_19identity_decomposerEEEvT1_T2_T3_T4_jPT5_SO_PNS1_23onesweep_lookback_stateET6_jjj,comdat
.Lfunc_end14:
	.size	_ZN7rocprim17ROCPRIM_304000_NS6detail25onesweep_iteration_kernelINS1_34wrapped_radix_sort_onesweep_configINS0_14default_configEmN2at4cuda3cub6detail10OpaqueTypeILi8EEEEELb1EPKmPmPKSA_PSA_mNS0_19identity_decomposerEEEvT1_T2_T3_T4_jPT5_SO_PNS1_23onesweep_lookback_stateET6_jjj, .Lfunc_end14-_ZN7rocprim17ROCPRIM_304000_NS6detail25onesweep_iteration_kernelINS1_34wrapped_radix_sort_onesweep_configINS0_14default_configEmN2at4cuda3cub6detail10OpaqueTypeILi8EEEEELb1EPKmPmPKSA_PSA_mNS0_19identity_decomposerEEEvT1_T2_T3_T4_jPT5_SO_PNS1_23onesweep_lookback_stateET6_jjj
                                        ; -- End function
	.set _ZN7rocprim17ROCPRIM_304000_NS6detail25onesweep_iteration_kernelINS1_34wrapped_radix_sort_onesweep_configINS0_14default_configEmN2at4cuda3cub6detail10OpaqueTypeILi8EEEEELb1EPKmPmPKSA_PSA_mNS0_19identity_decomposerEEEvT1_T2_T3_T4_jPT5_SO_PNS1_23onesweep_lookback_stateET6_jjj.num_vgpr, 47
	.set _ZN7rocprim17ROCPRIM_304000_NS6detail25onesweep_iteration_kernelINS1_34wrapped_radix_sort_onesweep_configINS0_14default_configEmN2at4cuda3cub6detail10OpaqueTypeILi8EEEEELb1EPKmPmPKSA_PSA_mNS0_19identity_decomposerEEEvT1_T2_T3_T4_jPT5_SO_PNS1_23onesweep_lookback_stateET6_jjj.num_agpr, 0
	.set _ZN7rocprim17ROCPRIM_304000_NS6detail25onesweep_iteration_kernelINS1_34wrapped_radix_sort_onesweep_configINS0_14default_configEmN2at4cuda3cub6detail10OpaqueTypeILi8EEEEELb1EPKmPmPKSA_PSA_mNS0_19identity_decomposerEEEvT1_T2_T3_T4_jPT5_SO_PNS1_23onesweep_lookback_stateET6_jjj.numbered_sgpr, 54
	.set _ZN7rocprim17ROCPRIM_304000_NS6detail25onesweep_iteration_kernelINS1_34wrapped_radix_sort_onesweep_configINS0_14default_configEmN2at4cuda3cub6detail10OpaqueTypeILi8EEEEELb1EPKmPmPKSA_PSA_mNS0_19identity_decomposerEEEvT1_T2_T3_T4_jPT5_SO_PNS1_23onesweep_lookback_stateET6_jjj.num_named_barrier, 0
	.set _ZN7rocprim17ROCPRIM_304000_NS6detail25onesweep_iteration_kernelINS1_34wrapped_radix_sort_onesweep_configINS0_14default_configEmN2at4cuda3cub6detail10OpaqueTypeILi8EEEEELb1EPKmPmPKSA_PSA_mNS0_19identity_decomposerEEEvT1_T2_T3_T4_jPT5_SO_PNS1_23onesweep_lookback_stateET6_jjj.private_seg_size, 0
	.set _ZN7rocprim17ROCPRIM_304000_NS6detail25onesweep_iteration_kernelINS1_34wrapped_radix_sort_onesweep_configINS0_14default_configEmN2at4cuda3cub6detail10OpaqueTypeILi8EEEEELb1EPKmPmPKSA_PSA_mNS0_19identity_decomposerEEEvT1_T2_T3_T4_jPT5_SO_PNS1_23onesweep_lookback_stateET6_jjj.uses_vcc, 1
	.set _ZN7rocprim17ROCPRIM_304000_NS6detail25onesweep_iteration_kernelINS1_34wrapped_radix_sort_onesweep_configINS0_14default_configEmN2at4cuda3cub6detail10OpaqueTypeILi8EEEEELb1EPKmPmPKSA_PSA_mNS0_19identity_decomposerEEEvT1_T2_T3_T4_jPT5_SO_PNS1_23onesweep_lookback_stateET6_jjj.uses_flat_scratch, 0
	.set _ZN7rocprim17ROCPRIM_304000_NS6detail25onesweep_iteration_kernelINS1_34wrapped_radix_sort_onesweep_configINS0_14default_configEmN2at4cuda3cub6detail10OpaqueTypeILi8EEEEELb1EPKmPmPKSA_PSA_mNS0_19identity_decomposerEEEvT1_T2_T3_T4_jPT5_SO_PNS1_23onesweep_lookback_stateET6_jjj.has_dyn_sized_stack, 0
	.set _ZN7rocprim17ROCPRIM_304000_NS6detail25onesweep_iteration_kernelINS1_34wrapped_radix_sort_onesweep_configINS0_14default_configEmN2at4cuda3cub6detail10OpaqueTypeILi8EEEEELb1EPKmPmPKSA_PSA_mNS0_19identity_decomposerEEEvT1_T2_T3_T4_jPT5_SO_PNS1_23onesweep_lookback_stateET6_jjj.has_recursion, 0
	.set _ZN7rocprim17ROCPRIM_304000_NS6detail25onesweep_iteration_kernelINS1_34wrapped_radix_sort_onesweep_configINS0_14default_configEmN2at4cuda3cub6detail10OpaqueTypeILi8EEEEELb1EPKmPmPKSA_PSA_mNS0_19identity_decomposerEEEvT1_T2_T3_T4_jPT5_SO_PNS1_23onesweep_lookback_stateET6_jjj.has_indirect_call, 0
	.section	.AMDGPU.csdata,"",@progbits
; Kernel info:
; codeLenInByte = 11208
; TotalNumSgprs: 58
; NumVgprs: 47
; ScratchSize: 0
; MemoryBound: 1
; FloatMode: 240
; IeeeMode: 1
; LDSByteSize: 26624 bytes/workgroup (compile time only)
; SGPRBlocks: 12
; VGPRBlocks: 12
; NumSGPRsForWavesPerEU: 102
; NumVGPRsForWavesPerEU: 49
; Occupancy: 4
; WaveLimiterHint : 1
; COMPUTE_PGM_RSRC2:SCRATCH_EN: 0
; COMPUTE_PGM_RSRC2:USER_SGPR: 6
; COMPUTE_PGM_RSRC2:TRAP_HANDLER: 0
; COMPUTE_PGM_RSRC2:TGID_X_EN: 1
; COMPUTE_PGM_RSRC2:TGID_Y_EN: 0
; COMPUTE_PGM_RSRC2:TGID_Z_EN: 0
; COMPUTE_PGM_RSRC2:TIDIG_COMP_CNT: 2
	.section	.text._ZN7rocprim17ROCPRIM_304000_NS6detail25onesweep_iteration_kernelINS1_34wrapped_radix_sort_onesweep_configINS0_14default_configEmN2at4cuda3cub6detail10OpaqueTypeILi8EEEEELb1EPmSC_PSA_SD_mNS0_19identity_decomposerEEEvT1_T2_T3_T4_jPT5_SK_PNS1_23onesweep_lookback_stateET6_jjj,"axG",@progbits,_ZN7rocprim17ROCPRIM_304000_NS6detail25onesweep_iteration_kernelINS1_34wrapped_radix_sort_onesweep_configINS0_14default_configEmN2at4cuda3cub6detail10OpaqueTypeILi8EEEEELb1EPmSC_PSA_SD_mNS0_19identity_decomposerEEEvT1_T2_T3_T4_jPT5_SK_PNS1_23onesweep_lookback_stateET6_jjj,comdat
	.protected	_ZN7rocprim17ROCPRIM_304000_NS6detail25onesweep_iteration_kernelINS1_34wrapped_radix_sort_onesweep_configINS0_14default_configEmN2at4cuda3cub6detail10OpaqueTypeILi8EEEEELb1EPmSC_PSA_SD_mNS0_19identity_decomposerEEEvT1_T2_T3_T4_jPT5_SK_PNS1_23onesweep_lookback_stateET6_jjj ; -- Begin function _ZN7rocprim17ROCPRIM_304000_NS6detail25onesweep_iteration_kernelINS1_34wrapped_radix_sort_onesweep_configINS0_14default_configEmN2at4cuda3cub6detail10OpaqueTypeILi8EEEEELb1EPmSC_PSA_SD_mNS0_19identity_decomposerEEEvT1_T2_T3_T4_jPT5_SK_PNS1_23onesweep_lookback_stateET6_jjj
	.globl	_ZN7rocprim17ROCPRIM_304000_NS6detail25onesweep_iteration_kernelINS1_34wrapped_radix_sort_onesweep_configINS0_14default_configEmN2at4cuda3cub6detail10OpaqueTypeILi8EEEEELb1EPmSC_PSA_SD_mNS0_19identity_decomposerEEEvT1_T2_T3_T4_jPT5_SK_PNS1_23onesweep_lookback_stateET6_jjj
	.p2align	8
	.type	_ZN7rocprim17ROCPRIM_304000_NS6detail25onesweep_iteration_kernelINS1_34wrapped_radix_sort_onesweep_configINS0_14default_configEmN2at4cuda3cub6detail10OpaqueTypeILi8EEEEELb1EPmSC_PSA_SD_mNS0_19identity_decomposerEEEvT1_T2_T3_T4_jPT5_SK_PNS1_23onesweep_lookback_stateET6_jjj,@function
_ZN7rocprim17ROCPRIM_304000_NS6detail25onesweep_iteration_kernelINS1_34wrapped_radix_sort_onesweep_configINS0_14default_configEmN2at4cuda3cub6detail10OpaqueTypeILi8EEEEELb1EPmSC_PSA_SD_mNS0_19identity_decomposerEEEvT1_T2_T3_T4_jPT5_SK_PNS1_23onesweep_lookback_stateET6_jjj: ; @_ZN7rocprim17ROCPRIM_304000_NS6detail25onesweep_iteration_kernelINS1_34wrapped_radix_sort_onesweep_configINS0_14default_configEmN2at4cuda3cub6detail10OpaqueTypeILi8EEEEELb1EPmSC_PSA_SD_mNS0_19identity_decomposerEEEvT1_T2_T3_T4_jPT5_SK_PNS1_23onesweep_lookback_stateET6_jjj
; %bb.0:
	s_load_dwordx4 s[48:51], s[4:5], 0x44
	s_load_dwordx8 s[36:43], s[4:5], 0x0
	s_load_dwordx4 s[44:47], s[4:5], 0x28
	s_load_dwordx2 s[30:31], s[4:5], 0x38
	s_mov_b64 s[0:1], -1
	s_waitcnt lgkmcnt(0)
	s_cmp_ge_u32 s6, s50
	s_mul_i32 s34, s6, 0xc00
	v_mbcnt_lo_u32_b32 v19, -1, 0
	s_cbranch_scc0 .LBB15_96
; %bb.1:
	s_load_dword s0, s[4:5], 0x20
	s_mul_i32 s1, s50, 0xfffff400
	s_mov_b32 s35, 0
	s_lshl_b64 s[50:51], s[34:35], 3
	v_mbcnt_hi_u32_b32 v22, -1, v19
	s_waitcnt lgkmcnt(0)
	s_add_i32 s35, s1, s0
	s_add_u32 s0, s36, s50
	s_addc_u32 s1, s37, s51
	v_and_b32_e32 v23, 0x1c0, v0
	v_lshlrev_b32_e32 v20, 3, v22
	v_mul_u32_u24_e32 v3, 6, v23
	v_mov_b32_e32 v4, s1
	v_add_co_u32_e32 v5, vcc, s0, v20
	v_addc_co_u32_e32 v4, vcc, 0, v4, vcc
	v_lshlrev_b32_e32 v21, 3, v3
	v_add_co_u32_e32 v15, vcc, v5, v21
	v_addc_co_u32_e32 v16, vcc, 0, v4, vcc
	v_or_b32_e32 v17, v22, v3
	v_mov_b32_e32 v3, -1
	v_mov_b32_e32 v5, -1
	;; [unrolled: 1-line block ×4, first 2 shown]
	v_cmp_gt_u32_e32 vcc, s35, v17
	s_and_saveexec_b64 s[0:1], vcc
	s_cbranch_execz .LBB15_3
; %bb.2:
	global_load_dwordx2 v[5:6], v[15:16], off
	s_waitcnt vmcnt(0)
	v_not_b32_e32 v6, v6
	v_not_b32_e32 v5, v5
.LBB15_3:
	s_or_b64 exec, exec, s[0:1]
	v_add_u32_e32 v7, 64, v17
	v_cmp_gt_u32_e64 s[0:1], s35, v7
	s_and_saveexec_b64 s[2:3], s[0:1]
	s_cbranch_execz .LBB15_5
; %bb.4:
	global_load_dwordx2 v[3:4], v[15:16], off offset:512
	s_waitcnt vmcnt(0)
	v_not_b32_e32 v4, v4
	v_not_b32_e32 v3, v3
.LBB15_5:
	s_or_b64 exec, exec, s[2:3]
	v_add_u32_e32 v11, 0x80, v17
	v_mov_b32_e32 v7, -1
	v_mov_b32_e32 v9, -1
	;; [unrolled: 1-line block ×4, first 2 shown]
	v_cmp_gt_u32_e64 s[2:3], s35, v11
	s_and_saveexec_b64 s[8:9], s[2:3]
	s_cbranch_execz .LBB15_7
; %bb.6:
	global_load_dwordx2 v[9:10], v[15:16], off offset:1024
	s_waitcnt vmcnt(0)
	v_not_b32_e32 v10, v10
	v_not_b32_e32 v9, v9
.LBB15_7:
	s_or_b64 exec, exec, s[8:9]
	v_add_u32_e32 v11, 0xc0, v17
	v_cmp_gt_u32_e64 s[26:27], s35, v11
	s_and_saveexec_b64 s[8:9], s[26:27]
	s_cbranch_execz .LBB15_9
; %bb.8:
	global_load_dwordx2 v[7:8], v[15:16], off offset:1536
	s_waitcnt vmcnt(0)
	v_not_b32_e32 v8, v8
	v_not_b32_e32 v7, v7
.LBB15_9:
	s_or_b64 exec, exec, s[8:9]
	v_add_u32_e32 v18, 0x100, v17
	v_mov_b32_e32 v11, -1
	v_mov_b32_e32 v13, -1
	;; [unrolled: 1-line block ×4, first 2 shown]
	v_cmp_gt_u32_e64 s[8:9], s35, v18
	s_and_saveexec_b64 s[10:11], s[8:9]
	s_cbranch_execz .LBB15_11
; %bb.10:
	global_load_dwordx2 v[13:14], v[15:16], off offset:2048
	s_waitcnt vmcnt(0)
	v_not_b32_e32 v14, v14
	v_not_b32_e32 v13, v13
.LBB15_11:
	s_or_b64 exec, exec, s[10:11]
	v_add_u32_e32 v17, 0x140, v17
	v_cmp_gt_u32_e64 s[10:11], s35, v17
	s_and_saveexec_b64 s[12:13], s[10:11]
	s_cbranch_execz .LBB15_13
; %bb.12:
	global_load_dwordx2 v[11:12], v[15:16], off offset:2560
	s_waitcnt vmcnt(0)
	v_not_b32_e32 v12, v12
	v_not_b32_e32 v11, v11
.LBB15_13:
	s_or_b64 exec, exec, s[12:13]
	s_load_dword s12, s[4:5], 0x5c
	s_load_dword s7, s[4:5], 0x50
	s_add_u32 s13, s4, 0x50
	s_addc_u32 s14, s5, 0
	v_mov_b32_e32 v15, 0
	s_waitcnt lgkmcnt(0)
	s_lshr_b32 s15, s12, 16
	s_cmp_lt_u32 s6, s7
	s_cselect_b32 s12, 12, 18
	s_add_u32 s12, s13, s12
	s_addc_u32 s13, s14, 0
	global_load_ushort v18, v15, s[12:13]
	v_lshrrev_b64 v[16:17], s48, v[5:6]
	s_lshl_b32 s12, -1, s49
	s_not_b32 s33, s12
	v_and_b32_e32 v25, s33, v16
	v_and_b32_e32 v26, 1, v25
	v_add_co_u32_e64 v28, s[12:13], -1, v26
	v_lshlrev_b32_e32 v16, 30, v25
	v_addc_co_u32_e64 v29, s[12:13], 0, -1, s[12:13]
	v_mad_u32_u24 v17, v2, s15, v1
	v_cmp_ne_u32_e64 s[12:13], 0, v26
	v_cmp_gt_i64_e64 s[14:15], 0, v[15:16]
	v_not_b32_e32 v26, v16
	v_lshlrev_b32_e32 v16, 29, v25
	v_xor_b32_e32 v29, s13, v29
	v_xor_b32_e32 v28, s12, v28
	v_ashrrev_i32_e32 v26, 31, v26
	v_cmp_gt_i64_e64 s[12:13], 0, v[15:16]
	v_not_b32_e32 v30, v16
	v_lshlrev_b32_e32 v16, 28, v25
	v_and_b32_e32 v29, exec_hi, v29
	v_and_b32_e32 v28, exec_lo, v28
	v_xor_b32_e32 v31, s15, v26
	v_xor_b32_e32 v26, s14, v26
	v_ashrrev_i32_e32 v30, 31, v30
	v_cmp_gt_i64_e64 s[14:15], 0, v[15:16]
	v_not_b32_e32 v32, v16
	v_lshlrev_b32_e32 v16, 27, v25
	v_and_b32_e32 v29, v29, v31
	v_and_b32_e32 v26, v28, v26
	v_xor_b32_e32 v28, s13, v30
	v_xor_b32_e32 v30, s12, v30
	v_ashrrev_i32_e32 v31, 31, v32
	v_cmp_gt_i64_e64 s[12:13], 0, v[15:16]
	v_not_b32_e32 v32, v16
	v_lshlrev_b32_e32 v16, 26, v25
	v_and_b32_e32 v28, v29, v28
	v_and_b32_e32 v26, v26, v30
	;; [unrolled: 8-line block ×3, first 2 shown]
	v_xor_b32_e32 v29, s13, v31
	v_xor_b32_e32 v30, s12, v31
	v_ashrrev_i32_e32 v31, 31, v32
	v_cmp_gt_i64_e64 s[12:13], 0, v[15:16]
	v_not_b32_e32 v32, v16
	v_mul_lo_u32 v27, v25, 36
	v_lshlrev_b32_e32 v16, 24, v25
	v_and_b32_e32 v25, v28, v29
	v_and_b32_e32 v26, v26, v30
	v_xor_b32_e32 v28, s15, v31
	v_xor_b32_e32 v29, s14, v31
	v_ashrrev_i32_e32 v30, 31, v32
	v_and_b32_e32 v25, v25, v28
	v_and_b32_e32 v26, v26, v29
	v_xor_b32_e32 v28, s13, v30
	v_xor_b32_e32 v29, s12, v30
	v_cmp_gt_i64_e64 s[14:15], 0, v[15:16]
	v_not_b32_e32 v16, v16
	v_and_b32_e32 v28, v25, v28
	v_and_b32_e32 v29, v26, v29
	v_ashrrev_i32_e32 v16, 31, v16
	v_xor_b32_e32 v30, s15, v16
	v_xor_b32_e32 v16, s14, v16
	v_and_b32_e32 v16, v29, v16
	v_mul_u32_u24_e32 v24, 20, v0
	ds_write2_b32 v24, v15, v15 offset0:8 offset1:9
	ds_write2_b32 v24, v15, v15 offset0:10 offset1:11
	ds_write_b32 v24, v15 offset:48
	s_waitcnt vmcnt(0) lgkmcnt(0)
	s_barrier
	; wave barrier
	v_mad_u64_u32 v[25:26], s[12:13], v17, v18, v[0:1]
	v_and_b32_e32 v17, v28, v30
	v_cmp_ne_u64_e64 s[12:13], 0, v[16:17]
	v_lshrrev_b32_e32 v18, 6, v25
	v_mbcnt_lo_u32_b32 v25, v16, 0
	v_mbcnt_hi_u32_b32 v25, v17, v25
	v_cmp_eq_u32_e64 s[14:15], 0, v25
	v_lshl_add_u32 v27, v18, 2, v27
	s_and_b64 s[14:15], s[12:13], s[14:15]
	s_and_saveexec_b64 s[12:13], s[14:15]
; %bb.14:
	v_bcnt_u32_b32 v16, v16, 0
	v_bcnt_u32_b32 v16, v17, v16
	ds_write_b32 v27, v16 offset:32
; %bb.15:
	s_or_b64 exec, exec, s[12:13]
	v_lshrrev_b64 v[16:17], s48, v[3:4]
	v_and_b32_e32 v17, s33, v16
	v_mul_lo_u32 v16, v17, 36
	v_and_b32_e32 v29, 1, v17
	; wave barrier
	v_lshl_add_u32 v28, v18, 2, v16
	v_add_co_u32_e64 v16, s[12:13], -1, v29
	v_addc_co_u32_e64 v30, s[12:13], 0, -1, s[12:13]
	v_cmp_ne_u32_e64 s[12:13], 0, v29
	v_xor_b32_e32 v16, s12, v16
	v_xor_b32_e32 v29, s13, v30
	v_and_b32_e32 v30, exec_lo, v16
	v_lshlrev_b32_e32 v16, 30, v17
	v_cmp_gt_i64_e64 s[12:13], 0, v[15:16]
	v_not_b32_e32 v16, v16
	v_ashrrev_i32_e32 v16, 31, v16
	v_xor_b32_e32 v31, s13, v16
	v_xor_b32_e32 v16, s12, v16
	v_and_b32_e32 v30, v30, v16
	v_lshlrev_b32_e32 v16, 29, v17
	v_cmp_gt_i64_e64 s[12:13], 0, v[15:16]
	v_not_b32_e32 v16, v16
	v_and_b32_e32 v29, exec_hi, v29
	v_ashrrev_i32_e32 v16, 31, v16
	v_and_b32_e32 v29, v29, v31
	v_xor_b32_e32 v31, s13, v16
	v_xor_b32_e32 v16, s12, v16
	v_and_b32_e32 v30, v30, v16
	v_lshlrev_b32_e32 v16, 28, v17
	v_cmp_gt_i64_e64 s[12:13], 0, v[15:16]
	v_not_b32_e32 v16, v16
	v_ashrrev_i32_e32 v16, 31, v16
	v_and_b32_e32 v29, v29, v31
	v_xor_b32_e32 v31, s13, v16
	v_xor_b32_e32 v16, s12, v16
	v_and_b32_e32 v30, v30, v16
	v_lshlrev_b32_e32 v16, 27, v17
	v_cmp_gt_i64_e64 s[12:13], 0, v[15:16]
	v_not_b32_e32 v16, v16
	;; [unrolled: 8-line block ×5, first 2 shown]
	v_ashrrev_i32_e32 v15, 31, v15
	v_xor_b32_e32 v16, s13, v15
	v_xor_b32_e32 v15, s12, v15
	ds_read_b32 v26, v28 offset:32
	v_and_b32_e32 v29, v29, v31
	v_and_b32_e32 v15, v30, v15
	;; [unrolled: 1-line block ×3, first 2 shown]
	v_mbcnt_lo_u32_b32 v17, v15, 0
	v_mbcnt_hi_u32_b32 v29, v16, v17
	v_cmp_ne_u64_e64 s[12:13], 0, v[15:16]
	v_cmp_eq_u32_e64 s[14:15], 0, v29
	s_and_b64 s[14:15], s[12:13], s[14:15]
	; wave barrier
	s_and_saveexec_b64 s[12:13], s[14:15]
	s_cbranch_execz .LBB15_17
; %bb.16:
	v_bcnt_u32_b32 v15, v15, 0
	v_bcnt_u32_b32 v15, v16, v15
	s_waitcnt lgkmcnt(0)
	v_add_u32_e32 v15, v26, v15
	ds_write_b32 v28, v15 offset:32
.LBB15_17:
	s_or_b64 exec, exec, s[12:13]
	v_lshrrev_b64 v[15:16], s48, v[9:10]
	v_and_b32_e32 v17, s33, v15
	v_mul_lo_u32 v16, v17, 36
	v_and_b32_e32 v32, 1, v17
	v_mov_b32_e32 v15, 0
	; wave barrier
	v_lshl_add_u32 v31, v18, 2, v16
	v_add_co_u32_e64 v16, s[12:13], -1, v32
	v_addc_co_u32_e64 v33, s[12:13], 0, -1, s[12:13]
	v_cmp_ne_u32_e64 s[12:13], 0, v32
	v_xor_b32_e32 v16, s12, v16
	v_xor_b32_e32 v32, s13, v33
	v_and_b32_e32 v33, exec_lo, v16
	v_lshlrev_b32_e32 v16, 30, v17
	v_cmp_gt_i64_e64 s[12:13], 0, v[15:16]
	v_not_b32_e32 v16, v16
	v_ashrrev_i32_e32 v16, 31, v16
	v_xor_b32_e32 v34, s13, v16
	v_xor_b32_e32 v16, s12, v16
	v_and_b32_e32 v33, v33, v16
	v_lshlrev_b32_e32 v16, 29, v17
	v_cmp_gt_i64_e64 s[12:13], 0, v[15:16]
	v_not_b32_e32 v16, v16
	v_and_b32_e32 v32, exec_hi, v32
	v_ashrrev_i32_e32 v16, 31, v16
	v_and_b32_e32 v32, v32, v34
	v_xor_b32_e32 v34, s13, v16
	v_xor_b32_e32 v16, s12, v16
	v_and_b32_e32 v33, v33, v16
	v_lshlrev_b32_e32 v16, 28, v17
	v_cmp_gt_i64_e64 s[12:13], 0, v[15:16]
	v_not_b32_e32 v16, v16
	v_ashrrev_i32_e32 v16, 31, v16
	v_and_b32_e32 v32, v32, v34
	v_xor_b32_e32 v34, s13, v16
	v_xor_b32_e32 v16, s12, v16
	v_and_b32_e32 v33, v33, v16
	v_lshlrev_b32_e32 v16, 27, v17
	v_cmp_gt_i64_e64 s[12:13], 0, v[15:16]
	v_not_b32_e32 v16, v16
	;; [unrolled: 8-line block ×5, first 2 shown]
	v_ashrrev_i32_e32 v16, 31, v16
	v_xor_b32_e32 v17, s13, v16
	v_xor_b32_e32 v16, s12, v16
	ds_read_b32 v30, v31 offset:32
	v_and_b32_e32 v32, v32, v34
	v_and_b32_e32 v16, v33, v16
	;; [unrolled: 1-line block ×3, first 2 shown]
	v_mbcnt_lo_u32_b32 v32, v16, 0
	v_mbcnt_hi_u32_b32 v32, v17, v32
	v_cmp_ne_u64_e64 s[12:13], 0, v[16:17]
	v_cmp_eq_u32_e64 s[14:15], 0, v32
	s_and_b64 s[14:15], s[12:13], s[14:15]
	; wave barrier
	s_and_saveexec_b64 s[12:13], s[14:15]
	s_cbranch_execz .LBB15_19
; %bb.18:
	v_bcnt_u32_b32 v16, v16, 0
	v_bcnt_u32_b32 v16, v17, v16
	s_waitcnt lgkmcnt(0)
	v_add_u32_e32 v16, v30, v16
	ds_write_b32 v31, v16 offset:32
.LBB15_19:
	s_or_b64 exec, exec, s[12:13]
	v_lshrrev_b64 v[16:17], s48, v[7:8]
	v_and_b32_e32 v17, s33, v16
	v_mul_lo_u32 v16, v17, 36
	v_and_b32_e32 v35, 1, v17
	; wave barrier
	v_lshl_add_u32 v34, v18, 2, v16
	v_add_co_u32_e64 v16, s[12:13], -1, v35
	v_addc_co_u32_e64 v36, s[12:13], 0, -1, s[12:13]
	v_cmp_ne_u32_e64 s[12:13], 0, v35
	v_xor_b32_e32 v16, s12, v16
	v_xor_b32_e32 v35, s13, v36
	v_and_b32_e32 v36, exec_lo, v16
	v_lshlrev_b32_e32 v16, 30, v17
	v_cmp_gt_i64_e64 s[12:13], 0, v[15:16]
	v_not_b32_e32 v16, v16
	v_ashrrev_i32_e32 v16, 31, v16
	v_xor_b32_e32 v37, s13, v16
	v_xor_b32_e32 v16, s12, v16
	v_and_b32_e32 v36, v36, v16
	v_lshlrev_b32_e32 v16, 29, v17
	v_cmp_gt_i64_e64 s[12:13], 0, v[15:16]
	v_not_b32_e32 v16, v16
	v_and_b32_e32 v35, exec_hi, v35
	v_ashrrev_i32_e32 v16, 31, v16
	v_and_b32_e32 v35, v35, v37
	v_xor_b32_e32 v37, s13, v16
	v_xor_b32_e32 v16, s12, v16
	v_and_b32_e32 v36, v36, v16
	v_lshlrev_b32_e32 v16, 28, v17
	v_cmp_gt_i64_e64 s[12:13], 0, v[15:16]
	v_not_b32_e32 v16, v16
	v_ashrrev_i32_e32 v16, 31, v16
	v_and_b32_e32 v35, v35, v37
	v_xor_b32_e32 v37, s13, v16
	v_xor_b32_e32 v16, s12, v16
	v_and_b32_e32 v36, v36, v16
	v_lshlrev_b32_e32 v16, 27, v17
	v_cmp_gt_i64_e64 s[12:13], 0, v[15:16]
	v_not_b32_e32 v16, v16
	;; [unrolled: 8-line block ×5, first 2 shown]
	v_ashrrev_i32_e32 v15, 31, v15
	v_xor_b32_e32 v16, s13, v15
	v_xor_b32_e32 v15, s12, v15
	ds_read_b32 v33, v34 offset:32
	v_and_b32_e32 v35, v35, v37
	v_and_b32_e32 v15, v36, v15
	;; [unrolled: 1-line block ×3, first 2 shown]
	v_mbcnt_lo_u32_b32 v17, v15, 0
	v_mbcnt_hi_u32_b32 v35, v16, v17
	v_cmp_ne_u64_e64 s[12:13], 0, v[15:16]
	v_cmp_eq_u32_e64 s[14:15], 0, v35
	s_and_b64 s[14:15], s[12:13], s[14:15]
	; wave barrier
	s_and_saveexec_b64 s[12:13], s[14:15]
	s_cbranch_execz .LBB15_21
; %bb.20:
	v_bcnt_u32_b32 v15, v15, 0
	v_bcnt_u32_b32 v15, v16, v15
	s_waitcnt lgkmcnt(0)
	v_add_u32_e32 v15, v33, v15
	ds_write_b32 v34, v15 offset:32
.LBB15_21:
	s_or_b64 exec, exec, s[12:13]
	v_lshrrev_b64 v[15:16], s48, v[13:14]
	v_and_b32_e32 v17, s33, v15
	v_mul_lo_u32 v16, v17, 36
	v_and_b32_e32 v38, 1, v17
	v_mov_b32_e32 v15, 0
	; wave barrier
	v_lshl_add_u32 v37, v18, 2, v16
	v_add_co_u32_e64 v16, s[12:13], -1, v38
	v_addc_co_u32_e64 v39, s[12:13], 0, -1, s[12:13]
	v_cmp_ne_u32_e64 s[12:13], 0, v38
	v_xor_b32_e32 v16, s12, v16
	v_xor_b32_e32 v38, s13, v39
	v_and_b32_e32 v39, exec_lo, v16
	v_lshlrev_b32_e32 v16, 30, v17
	v_cmp_gt_i64_e64 s[12:13], 0, v[15:16]
	v_not_b32_e32 v16, v16
	v_ashrrev_i32_e32 v16, 31, v16
	v_xor_b32_e32 v40, s13, v16
	v_xor_b32_e32 v16, s12, v16
	v_and_b32_e32 v39, v39, v16
	v_lshlrev_b32_e32 v16, 29, v17
	v_cmp_gt_i64_e64 s[12:13], 0, v[15:16]
	v_not_b32_e32 v16, v16
	v_and_b32_e32 v38, exec_hi, v38
	v_ashrrev_i32_e32 v16, 31, v16
	v_and_b32_e32 v38, v38, v40
	v_xor_b32_e32 v40, s13, v16
	v_xor_b32_e32 v16, s12, v16
	v_and_b32_e32 v39, v39, v16
	v_lshlrev_b32_e32 v16, 28, v17
	v_cmp_gt_i64_e64 s[12:13], 0, v[15:16]
	v_not_b32_e32 v16, v16
	v_ashrrev_i32_e32 v16, 31, v16
	v_and_b32_e32 v38, v38, v40
	v_xor_b32_e32 v40, s13, v16
	v_xor_b32_e32 v16, s12, v16
	v_and_b32_e32 v39, v39, v16
	v_lshlrev_b32_e32 v16, 27, v17
	v_cmp_gt_i64_e64 s[12:13], 0, v[15:16]
	v_not_b32_e32 v16, v16
	;; [unrolled: 8-line block ×5, first 2 shown]
	v_ashrrev_i32_e32 v16, 31, v16
	v_xor_b32_e32 v17, s13, v16
	v_xor_b32_e32 v16, s12, v16
	ds_read_b32 v36, v37 offset:32
	v_and_b32_e32 v38, v38, v40
	v_and_b32_e32 v16, v39, v16
	;; [unrolled: 1-line block ×3, first 2 shown]
	v_mbcnt_lo_u32_b32 v38, v16, 0
	v_mbcnt_hi_u32_b32 v38, v17, v38
	v_cmp_ne_u64_e64 s[12:13], 0, v[16:17]
	v_cmp_eq_u32_e64 s[14:15], 0, v38
	s_and_b64 s[14:15], s[12:13], s[14:15]
	; wave barrier
	s_and_saveexec_b64 s[12:13], s[14:15]
	s_cbranch_execz .LBB15_23
; %bb.22:
	v_bcnt_u32_b32 v16, v16, 0
	v_bcnt_u32_b32 v16, v17, v16
	s_waitcnt lgkmcnt(0)
	v_add_u32_e32 v16, v36, v16
	ds_write_b32 v37, v16 offset:32
.LBB15_23:
	s_or_b64 exec, exec, s[12:13]
	v_lshrrev_b64 v[16:17], s48, v[11:12]
	v_and_b32_e32 v17, s33, v16
	v_mul_lo_u32 v16, v17, 36
	v_and_b32_e32 v41, 1, v17
	; wave barrier
	v_lshl_add_u32 v40, v18, 2, v16
	v_add_co_u32_e64 v16, s[12:13], -1, v41
	v_addc_co_u32_e64 v18, s[12:13], 0, -1, s[12:13]
	v_cmp_ne_u32_e64 s[12:13], 0, v41
	v_xor_b32_e32 v16, s12, v16
	v_and_b32_e32 v41, exec_lo, v16
	v_lshlrev_b32_e32 v16, 30, v17
	v_xor_b32_e32 v18, s13, v18
	v_cmp_gt_i64_e64 s[12:13], 0, v[15:16]
	v_not_b32_e32 v16, v16
	v_ashrrev_i32_e32 v16, 31, v16
	v_xor_b32_e32 v42, s13, v16
	v_xor_b32_e32 v16, s12, v16
	v_and_b32_e32 v41, v41, v16
	v_lshlrev_b32_e32 v16, 29, v17
	v_cmp_gt_i64_e64 s[12:13], 0, v[15:16]
	v_not_b32_e32 v16, v16
	v_and_b32_e32 v18, exec_hi, v18
	v_ashrrev_i32_e32 v16, 31, v16
	v_and_b32_e32 v18, v18, v42
	v_xor_b32_e32 v42, s13, v16
	v_xor_b32_e32 v16, s12, v16
	v_and_b32_e32 v41, v41, v16
	v_lshlrev_b32_e32 v16, 28, v17
	v_cmp_gt_i64_e64 s[12:13], 0, v[15:16]
	v_not_b32_e32 v16, v16
	v_ashrrev_i32_e32 v16, 31, v16
	v_and_b32_e32 v18, v18, v42
	v_xor_b32_e32 v42, s13, v16
	v_xor_b32_e32 v16, s12, v16
	v_and_b32_e32 v41, v41, v16
	v_lshlrev_b32_e32 v16, 27, v17
	v_cmp_gt_i64_e64 s[12:13], 0, v[15:16]
	v_not_b32_e32 v16, v16
	;; [unrolled: 8-line block ×5, first 2 shown]
	v_ashrrev_i32_e32 v15, 31, v15
	v_xor_b32_e32 v16, s13, v15
	v_xor_b32_e32 v15, s12, v15
	ds_read_b32 v39, v40 offset:32
	v_and_b32_e32 v18, v18, v42
	v_and_b32_e32 v15, v41, v15
	;; [unrolled: 1-line block ×3, first 2 shown]
	v_mbcnt_lo_u32_b32 v17, v15, 0
	v_mbcnt_hi_u32_b32 v41, v16, v17
	v_cmp_ne_u64_e64 s[12:13], 0, v[15:16]
	v_cmp_eq_u32_e64 s[14:15], 0, v41
	s_and_b64 s[14:15], s[12:13], s[14:15]
	; wave barrier
	s_and_saveexec_b64 s[12:13], s[14:15]
	s_cbranch_execz .LBB15_25
; %bb.24:
	v_bcnt_u32_b32 v15, v15, 0
	v_bcnt_u32_b32 v15, v16, v15
	s_waitcnt lgkmcnt(0)
	v_add_u32_e32 v15, v39, v15
	ds_write_b32 v40, v15 offset:32
.LBB15_25:
	s_or_b64 exec, exec, s[12:13]
	; wave barrier
	s_waitcnt lgkmcnt(0)
	s_barrier
	ds_read2_b32 v[17:18], v24 offset0:8 offset1:9
	ds_read2_b32 v[15:16], v24 offset0:10 offset1:11
	ds_read_b32 v42, v24 offset:48
	v_min_u32_e32 v23, 0x1c0, v23
	v_or_b32_e32 v23, 63, v23
	s_waitcnt lgkmcnt(1)
	v_add3_u32 v43, v18, v17, v15
	s_waitcnt lgkmcnt(0)
	v_add3_u32 v42, v43, v16, v42
	v_and_b32_e32 v43, 15, v22
	v_cmp_ne_u32_e64 s[12:13], 0, v43
	v_mov_b32_dpp v44, v42 row_shr:1 row_mask:0xf bank_mask:0xf
	v_cndmask_b32_e64 v44, 0, v44, s[12:13]
	v_add_u32_e32 v42, v44, v42
	v_cmp_lt_u32_e64 s[12:13], 1, v43
	s_nop 0
	v_mov_b32_dpp v44, v42 row_shr:2 row_mask:0xf bank_mask:0xf
	v_cndmask_b32_e64 v44, 0, v44, s[12:13]
	v_add_u32_e32 v42, v42, v44
	v_cmp_lt_u32_e64 s[12:13], 3, v43
	s_nop 0
	;; [unrolled: 5-line block ×3, first 2 shown]
	v_mov_b32_dpp v44, v42 row_shr:8 row_mask:0xf bank_mask:0xf
	v_cndmask_b32_e64 v43, 0, v44, s[12:13]
	v_add_u32_e32 v42, v42, v43
	v_bfe_i32 v44, v22, 4, 1
	v_cmp_lt_u32_e64 s[12:13], 31, v22
	v_mov_b32_dpp v43, v42 row_bcast:15 row_mask:0xf bank_mask:0xf
	v_and_b32_e32 v43, v44, v43
	v_add_u32_e32 v42, v42, v43
	s_nop 1
	v_mov_b32_dpp v43, v42 row_bcast:31 row_mask:0xf bank_mask:0xf
	v_cndmask_b32_e64 v43, 0, v43, s[12:13]
	v_add_u32_e32 v42, v42, v43
	v_lshrrev_b32_e32 v43, 6, v0
	v_cmp_eq_u32_e64 s[12:13], v0, v23
	s_and_saveexec_b64 s[14:15], s[12:13]
; %bb.26:
	v_lshlrev_b32_e32 v23, 2, v43
	ds_write_b32 v23, v42
; %bb.27:
	s_or_b64 exec, exec, s[14:15]
	v_cmp_gt_u32_e64 s[12:13], 8, v0
	s_waitcnt lgkmcnt(0)
	s_barrier
	s_and_saveexec_b64 s[14:15], s[12:13]
	s_cbranch_execz .LBB15_29
; %bb.28:
	v_lshlrev_b32_e32 v23, 2, v0
	ds_read_b32 v44, v23
	v_and_b32_e32 v45, 7, v22
	v_cmp_ne_u32_e64 s[12:13], 0, v45
	s_waitcnt lgkmcnt(0)
	v_mov_b32_dpp v46, v44 row_shr:1 row_mask:0xf bank_mask:0xf
	v_cndmask_b32_e64 v46, 0, v46, s[12:13]
	v_add_u32_e32 v44, v46, v44
	v_cmp_lt_u32_e64 s[12:13], 1, v45
	s_nop 0
	v_mov_b32_dpp v46, v44 row_shr:2 row_mask:0xf bank_mask:0xf
	v_cndmask_b32_e64 v46, 0, v46, s[12:13]
	v_add_u32_e32 v44, v44, v46
	v_cmp_lt_u32_e64 s[12:13], 3, v45
	s_nop 0
	v_mov_b32_dpp v46, v44 row_shr:4 row_mask:0xf bank_mask:0xf
	v_cndmask_b32_e64 v45, 0, v46, s[12:13]
	v_add_u32_e32 v44, v44, v45
	ds_write_b32 v23, v44
.LBB15_29:
	s_or_b64 exec, exec, s[14:15]
	v_cmp_lt_u32_e64 s[12:13], 63, v0
	v_mov_b32_e32 v23, 0
	s_waitcnt lgkmcnt(0)
	s_barrier
	s_and_saveexec_b64 s[14:15], s[12:13]
; %bb.30:
	v_lshl_add_u32 v23, v43, 2, -4
	ds_read_b32 v23, v23
; %bb.31:
	s_or_b64 exec, exec, s[14:15]
	v_add_u32_e32 v43, -1, v22
	v_and_b32_e32 v44, 64, v22
	v_cmp_lt_i32_e64 s[12:13], v43, v44
	v_cndmask_b32_e64 v43, v43, v22, s[12:13]
	s_waitcnt lgkmcnt(0)
	v_add_u32_e32 v42, v23, v42
	v_lshlrev_b32_e32 v43, 2, v43
	ds_bpermute_b32 v42, v43, v42
	v_cmp_eq_u32_e64 s[12:13], 0, v22
	s_movk_i32 s16, 0x100
	v_cmp_gt_u32_e64 s[14:15], s16, v0
	s_waitcnt lgkmcnt(0)
	v_cndmask_b32_e64 v22, v42, v23, s[12:13]
	v_cmp_ne_u32_e64 s[12:13], 0, v0
	v_cndmask_b32_e64 v22, 0, v22, s[12:13]
	v_add_u32_e32 v17, v22, v17
	v_add_u32_e32 v18, v17, v18
	;; [unrolled: 1-line block ×4, first 2 shown]
	ds_write2_b32 v24, v22, v17 offset0:8 offset1:9
	ds_write2_b32 v24, v18, v15 offset0:10 offset1:11
	ds_write_b32 v24, v16 offset:48
	s_waitcnt lgkmcnt(0)
	s_barrier
	ds_read_b32 v24, v27 offset:32
	ds_read_b32 v28, v28 offset:32
	;; [unrolled: 1-line block ×6, first 2 shown]
	s_movk_i32 s12, 0xff
	v_mov_b32_e32 v15, 0
	v_cmp_lt_u32_e64 s[12:13], s12, v0
	v_mov_b32_e32 v16, 0
                                        ; implicit-def: $vgpr22
	s_and_saveexec_b64 s[18:19], s[14:15]
	s_cbranch_execz .LBB15_35
; %bb.32:
	v_mul_u32_u24_e32 v15, 36, v0
	ds_read_b32 v15, v15 offset:32
	v_add_u32_e32 v22, 1, v0
	v_cmp_ne_u32_e64 s[16:17], s16, v22
	v_mov_b32_e32 v16, 0xc00
	s_and_saveexec_b64 s[20:21], s[16:17]
; %bb.33:
	v_mul_u32_u24_e32 v16, 36, v22
	ds_read_b32 v16, v16 offset:32
; %bb.34:
	s_or_b64 exec, exec, s[20:21]
	s_waitcnt lgkmcnt(0)
	v_sub_u32_e32 v22, v16, v15
	v_mov_b32_e32 v16, 0
.LBB15_35:
	s_or_b64 exec, exec, s[18:19]
	v_lshlrev_b32_e32 v25, 3, v25
	s_waitcnt lgkmcnt(5)
	v_lshl_add_u32 v24, v24, 3, v25
	s_waitcnt lgkmcnt(0)
	s_barrier
	ds_write_b64 v24, v[5:6] offset:2048
	v_lshlrev_b32_e32 v5, 3, v28
	v_lshlrev_b32_e32 v6, 3, v29
	;; [unrolled: 1-line block ×3, first 2 shown]
	v_add3_u32 v25, v5, v6, v25
	ds_write_b64 v25, v[3:4] offset:2048
	v_lshlrev_b32_e32 v3, 3, v27
	v_lshlrev_b32_e32 v4, 3, v32
	v_lshlrev_b32_e32 v5, 3, v30
	v_add3_u32 v26, v3, v4, v5
	v_lshlrev_b32_e32 v3, 3, v23
	v_lshlrev_b32_e32 v4, 3, v35
	v_lshlrev_b32_e32 v5, 3, v33
	v_add3_u32 v27, v3, v4, v5
	;; [unrolled: 4-line block ×4, first 2 shown]
	v_mov_b32_e32 v4, 0
	v_lshlrev_b32_e32 v23, 3, v0
	ds_write_b64 v26, v[9:10] offset:2048
	ds_write_b64 v27, v[7:8] offset:2048
	;; [unrolled: 1-line block ×4, first 2 shown]
	s_waitcnt lgkmcnt(0)
	s_barrier
	s_and_saveexec_b64 s[16:17], s[14:15]
	s_cbranch_execz .LBB15_45
; %bb.36:
	v_lshl_add_u32 v3, s6, 8, v0
	v_lshlrev_b64 v[5:6], 2, v[3:4]
	v_mov_b32_e32 v9, s31
	v_add_co_u32_e64 v5, s[14:15], s30, v5
	v_addc_co_u32_e64 v6, s[14:15], v9, v6, s[14:15]
	v_or_b32_e32 v3, 2.0, v22
	s_mov_b64 s[18:19], 0
	s_brev_b32 s24, -4
	s_mov_b32 s25, s6
	v_mov_b32_e32 v10, 0
	global_store_dword v[5:6], v3, off
                                        ; implicit-def: $sgpr14_sgpr15
	s_branch .LBB15_39
.LBB15_37:                              ;   in Loop: Header=BB15_39 Depth=1
	s_or_b64 exec, exec, s[22:23]
.LBB15_38:                              ;   in Loop: Header=BB15_39 Depth=1
	s_or_b64 exec, exec, s[20:21]
	v_and_b32_e32 v7, 0x3fffffff, v3
	v_add_u32_e32 v10, v7, v10
	v_cmp_gt_i32_e64 s[14:15], -2.0, v3
	s_and_b64 s[20:21], exec, s[14:15]
	s_or_b64 s[18:19], s[20:21], s[18:19]
	s_andn2_b64 exec, exec, s[18:19]
	s_cbranch_execz .LBB15_44
.LBB15_39:                              ; =>This Loop Header: Depth=1
                                        ;     Child Loop BB15_42 Depth 2
	s_or_b64 s[14:15], s[14:15], exec
	s_cmp_eq_u32 s25, 0
	s_cbranch_scc1 .LBB15_43
; %bb.40:                               ;   in Loop: Header=BB15_39 Depth=1
	s_add_i32 s25, s25, -1
	v_lshl_or_b32 v3, s25, 8, v0
	v_lshlrev_b64 v[7:8], 2, v[3:4]
	v_add_co_u32_e64 v7, s[14:15], s30, v7
	v_addc_co_u32_e64 v8, s[14:15], v9, v8, s[14:15]
	global_load_dword v3, v[7:8], off glc
	s_waitcnt vmcnt(0)
	v_cmp_gt_u32_e64 s[14:15], 2.0, v3
	s_and_saveexec_b64 s[20:21], s[14:15]
	s_cbranch_execz .LBB15_38
; %bb.41:                               ;   in Loop: Header=BB15_39 Depth=1
	s_mov_b64 s[22:23], 0
.LBB15_42:                              ;   Parent Loop BB15_39 Depth=1
                                        ; =>  This Inner Loop Header: Depth=2
	global_load_dword v3, v[7:8], off glc
	s_waitcnt vmcnt(0)
	v_cmp_lt_u32_e64 s[14:15], s24, v3
	s_or_b64 s[22:23], s[14:15], s[22:23]
	s_andn2_b64 exec, exec, s[22:23]
	s_cbranch_execnz .LBB15_42
	s_branch .LBB15_37
.LBB15_43:                              ;   in Loop: Header=BB15_39 Depth=1
                                        ; implicit-def: $sgpr25
	s_and_b64 s[20:21], exec, s[14:15]
	s_or_b64 s[18:19], s[20:21], s[18:19]
	s_andn2_b64 exec, exec, s[18:19]
	s_cbranch_execnz .LBB15_39
.LBB15_44:
	s_or_b64 exec, exec, s[18:19]
	v_add_u32_e32 v3, v10, v22
	v_or_b32_e32 v3, 0x80000000, v3
	global_store_dword v[5:6], v3, off
	global_load_dwordx2 v[3:4], v23, s[44:45]
	v_sub_co_u32_e64 v5, s[14:15], v10, v15
	v_subb_co_u32_e64 v6, s[14:15], 0, v16, s[14:15]
	s_waitcnt vmcnt(0)
	v_add_co_u32_e64 v3, s[14:15], v5, v3
	v_addc_co_u32_e64 v4, s[14:15], v6, v4, s[14:15]
	ds_write_b64 v23, v[3:4]
.LBB15_45:
	s_or_b64 exec, exec, s[16:17]
	v_cmp_gt_u32_e64 s[14:15], s35, v0
	s_waitcnt lgkmcnt(0)
	s_barrier
	s_and_saveexec_b64 s[18:19], s[14:15]
	s_cbranch_execz .LBB15_47
; %bb.46:
	ds_read_b64 v[3:4], v23 offset:2048
	v_mov_b32_e32 v7, s39
	s_waitcnt lgkmcnt(0)
	v_lshrrev_b64 v[5:6], s48, v[3:4]
	v_not_b32_e32 v4, v4
	v_and_b32_e32 v5, s33, v5
	v_lshlrev_b32_e32 v5, 3, v5
	ds_read_b64 v[5:6], v5
	v_not_b32_e32 v3, v3
	s_waitcnt lgkmcnt(0)
	v_lshlrev_b64 v[5:6], 3, v[5:6]
	v_add_co_u32_e64 v5, s[16:17], s38, v5
	v_addc_co_u32_e64 v6, s[16:17], v7, v6, s[16:17]
	v_add_co_u32_e64 v5, s[16:17], v5, v23
	v_addc_co_u32_e64 v6, s[16:17], 0, v6, s[16:17]
	global_store_dwordx2 v[5:6], v[3:4], off
.LBB15_47:
	s_or_b64 exec, exec, s[18:19]
	v_or_b32_e32 v3, 0x200, v0
	v_cmp_gt_u32_e64 s[16:17], s35, v3
	v_lshlrev_b32_e32 v30, 3, v3
	s_and_saveexec_b64 s[20:21], s[16:17]
	s_cbranch_execz .LBB15_49
; %bb.48:
	ds_read_b64 v[3:4], v23 offset:6144
	v_mov_b32_e32 v7, s39
	s_waitcnt lgkmcnt(0)
	v_lshrrev_b64 v[5:6], s48, v[3:4]
	v_not_b32_e32 v4, v4
	v_and_b32_e32 v5, s33, v5
	v_lshlrev_b32_e32 v5, 3, v5
	ds_read_b64 v[5:6], v5
	v_not_b32_e32 v3, v3
	s_waitcnt lgkmcnt(0)
	v_lshlrev_b64 v[5:6], 3, v[5:6]
	v_add_co_u32_e64 v5, s[18:19], s38, v5
	v_addc_co_u32_e64 v6, s[18:19], v7, v6, s[18:19]
	v_add_co_u32_e64 v5, s[18:19], v5, v30
	v_addc_co_u32_e64 v6, s[18:19], 0, v6, s[18:19]
	global_store_dwordx2 v[5:6], v[3:4], off
.LBB15_49:
	s_or_b64 exec, exec, s[20:21]
	v_or_b32_e32 v3, 0x400, v0
	v_cmp_gt_u32_e64 s[18:19], s35, v3
	v_lshlrev_b32_e32 v31, 3, v3
	;; [unrolled: 24-line block ×5, first 2 shown]
	s_and_saveexec_b64 s[52:53], s[24:25]
	s_cbranch_execz .LBB15_57
; %bb.56:
	ds_read_b64 v[3:4], v23 offset:22528
	v_mov_b32_e32 v7, s39
	s_waitcnt lgkmcnt(0)
	v_lshrrev_b64 v[5:6], s48, v[3:4]
	v_not_b32_e32 v4, v4
	v_and_b32_e32 v5, s33, v5
	v_lshlrev_b32_e32 v5, 3, v5
	ds_read_b64 v[5:6], v5
	v_not_b32_e32 v3, v3
	s_waitcnt lgkmcnt(0)
	v_lshlrev_b64 v[5:6], 3, v[5:6]
	v_add_co_u32_e64 v5, s[28:29], s38, v5
	v_addc_co_u32_e64 v6, s[28:29], v7, v6, s[28:29]
	v_add_co_u32_e64 v5, s[28:29], v5, v34
	v_addc_co_u32_e64 v6, s[28:29], 0, v6, s[28:29]
	global_store_dwordx2 v[5:6], v[3:4], off
.LBB15_57:
	s_or_b64 exec, exec, s[52:53]
	s_add_u32 s28, s40, s50
	s_addc_u32 s29, s41, s51
	v_mov_b32_e32 v3, s29
	v_add_co_u32_e64 v4, s[28:29], s28, v20
	v_addc_co_u32_e64 v3, s[28:29], 0, v3, s[28:29]
	v_add_co_u32_e64 v17, s[28:29], v4, v21
	v_addc_co_u32_e64 v18, s[28:29], 0, v3, s[28:29]
                                        ; implicit-def: $vgpr3_vgpr4
	s_and_saveexec_b64 s[28:29], vcc
	s_xor_b64 s[28:29], exec, s[28:29]
	s_cbranch_execz .LBB15_63
; %bb.58:
	global_load_dwordx2 v[3:4], v[17:18], off
	s_or_b64 exec, exec, s[28:29]
                                        ; implicit-def: $vgpr5_vgpr6
	s_and_saveexec_b64 s[28:29], s[0:1]
	s_cbranch_execnz .LBB15_64
.LBB15_59:
	s_or_b64 exec, exec, s[28:29]
                                        ; implicit-def: $vgpr7_vgpr8
	s_and_saveexec_b64 s[0:1], s[2:3]
	s_cbranch_execz .LBB15_65
.LBB15_60:
	global_load_dwordx2 v[7:8], v[17:18], off offset:1024
	s_or_b64 exec, exec, s[0:1]
                                        ; implicit-def: $vgpr9_vgpr10
	s_and_saveexec_b64 s[0:1], s[26:27]
	s_cbranch_execnz .LBB15_66
.LBB15_61:
	s_or_b64 exec, exec, s[0:1]
                                        ; implicit-def: $vgpr11_vgpr12
	s_and_saveexec_b64 s[0:1], s[8:9]
	s_cbranch_execz .LBB15_67
.LBB15_62:
	global_load_dwordx2 v[11:12], v[17:18], off offset:2048
	s_or_b64 exec, exec, s[0:1]
                                        ; implicit-def: $vgpr13_vgpr14
	s_and_saveexec_b64 s[0:1], s[10:11]
	s_cbranch_execnz .LBB15_68
	s_branch .LBB15_69
.LBB15_63:
	s_or_b64 exec, exec, s[28:29]
                                        ; implicit-def: $vgpr5_vgpr6
	s_and_saveexec_b64 s[28:29], s[0:1]
	s_cbranch_execz .LBB15_59
.LBB15_64:
	global_load_dwordx2 v[5:6], v[17:18], off offset:512
	s_or_b64 exec, exec, s[28:29]
                                        ; implicit-def: $vgpr7_vgpr8
	s_and_saveexec_b64 s[0:1], s[2:3]
	s_cbranch_execnz .LBB15_60
.LBB15_65:
	s_or_b64 exec, exec, s[0:1]
                                        ; implicit-def: $vgpr9_vgpr10
	s_and_saveexec_b64 s[0:1], s[26:27]
	s_cbranch_execz .LBB15_61
.LBB15_66:
	global_load_dwordx2 v[9:10], v[17:18], off offset:1536
	s_or_b64 exec, exec, s[0:1]
                                        ; implicit-def: $vgpr11_vgpr12
	s_and_saveexec_b64 s[0:1], s[8:9]
	s_cbranch_execnz .LBB15_62
.LBB15_67:
	s_or_b64 exec, exec, s[0:1]
                                        ; implicit-def: $vgpr13_vgpr14
	s_and_saveexec_b64 s[0:1], s[10:11]
	s_cbranch_execz .LBB15_69
.LBB15_68:
	global_load_dwordx2 v[13:14], v[17:18], off offset:2560
.LBB15_69:
	s_or_b64 exec, exec, s[0:1]
	v_mov_b32_e32 v21, 0
	v_mov_b32_e32 v36, 0
	s_and_saveexec_b64 s[0:1], s[14:15]
	s_cbranch_execz .LBB15_71
; %bb.70:
	ds_read_b64 v[17:18], v23 offset:2048
	s_waitcnt lgkmcnt(0)
	v_lshrrev_b64 v[17:18], s48, v[17:18]
	v_and_b32_e32 v36, s33, v17
.LBB15_71:
	s_or_b64 exec, exec, s[0:1]
	s_and_saveexec_b64 s[0:1], s[16:17]
	s_cbranch_execz .LBB15_73
; %bb.72:
	ds_read_b64 v[17:18], v23 offset:6144
	s_waitcnt lgkmcnt(0)
	v_lshrrev_b64 v[17:18], s48, v[17:18]
	v_and_b32_e32 v21, s33, v17
.LBB15_73:
	s_or_b64 exec, exec, s[0:1]
	v_mov_b32_e32 v18, 0
	v_mov_b32_e32 v35, 0
	s_and_saveexec_b64 s[0:1], s[18:19]
	s_cbranch_execz .LBB15_75
; %bb.74:
	ds_read_b64 v[37:38], v23 offset:10240
	s_waitcnt lgkmcnt(0)
	v_lshrrev_b64 v[37:38], s48, v[37:38]
	v_and_b32_e32 v35, s33, v37
.LBB15_75:
	s_or_b64 exec, exec, s[0:1]
	s_and_saveexec_b64 s[0:1], s[20:21]
	s_cbranch_execz .LBB15_77
; %bb.76:
	ds_read_b64 v[17:18], v23 offset:14336
	s_waitcnt lgkmcnt(0)
	v_lshrrev_b64 v[17:18], s48, v[17:18]
	v_and_b32_e32 v18, s33, v17
.LBB15_77:
	;; [unrolled: 20-line block ×3, first 2 shown]
	s_or_b64 exec, exec, s[0:1]
	s_waitcnt vmcnt(0)
	s_barrier
	ds_write_b64 v24, v[3:4] offset:2048
	ds_write_b64 v25, v[5:6] offset:2048
	;; [unrolled: 1-line block ×6, first 2 shown]
	s_waitcnt lgkmcnt(0)
	s_barrier
	s_and_saveexec_b64 s[0:1], s[14:15]
	s_cbranch_execz .LBB15_87
; %bb.82:
	v_lshlrev_b32_e32 v3, 3, v36
	ds_read_b64 v[3:4], v3
	ds_read_b64 v[5:6], v23 offset:2048
	v_mov_b32_e32 v7, s43
	s_waitcnt lgkmcnt(1)
	v_lshlrev_b64 v[3:4], 3, v[3:4]
	v_add_co_u32_e32 v3, vcc, s42, v3
	v_addc_co_u32_e32 v4, vcc, v7, v4, vcc
	v_add_co_u32_e32 v3, vcc, v3, v23
	v_addc_co_u32_e32 v4, vcc, 0, v4, vcc
	s_waitcnt lgkmcnt(0)
	global_store_dwordx2 v[3:4], v[5:6], off
	s_or_b64 exec, exec, s[0:1]
	s_and_saveexec_b64 s[0:1], s[16:17]
	s_cbranch_execnz .LBB15_88
.LBB15_83:
	s_or_b64 exec, exec, s[0:1]
	s_and_saveexec_b64 s[0:1], s[18:19]
	s_cbranch_execz .LBB15_89
.LBB15_84:
	v_lshlrev_b32_e32 v3, 3, v35
	ds_read_b64 v[3:4], v3
	ds_read_b64 v[5:6], v23 offset:10240
	v_mov_b32_e32 v7, s43
	s_waitcnt lgkmcnt(1)
	v_lshlrev_b64 v[3:4], 3, v[3:4]
	v_add_co_u32_e32 v3, vcc, s42, v3
	v_addc_co_u32_e32 v4, vcc, v7, v4, vcc
	v_add_co_u32_e32 v3, vcc, v3, v31
	v_addc_co_u32_e32 v4, vcc, 0, v4, vcc
	s_waitcnt lgkmcnt(0)
	global_store_dwordx2 v[3:4], v[5:6], off
	s_or_b64 exec, exec, s[0:1]
	s_and_saveexec_b64 s[0:1], s[20:21]
	s_cbranch_execnz .LBB15_90
.LBB15_85:
	s_or_b64 exec, exec, s[0:1]
	s_and_saveexec_b64 s[0:1], s[22:23]
	s_cbranch_execz .LBB15_91
.LBB15_86:
	v_lshlrev_b32_e32 v3, 3, v20
	ds_read_b64 v[3:4], v3
	ds_read_b64 v[5:6], v23 offset:18432
	v_mov_b32_e32 v7, s43
	s_waitcnt lgkmcnt(1)
	v_lshlrev_b64 v[3:4], 3, v[3:4]
	v_add_co_u32_e32 v3, vcc, s42, v3
	v_addc_co_u32_e32 v4, vcc, v7, v4, vcc
	v_add_co_u32_e32 v3, vcc, v3, v33
	v_addc_co_u32_e32 v4, vcc, 0, v4, vcc
	s_waitcnt lgkmcnt(0)
	global_store_dwordx2 v[3:4], v[5:6], off
	s_or_b64 exec, exec, s[0:1]
	s_and_saveexec_b64 s[0:1], s[24:25]
	s_cbranch_execnz .LBB15_92
	s_branch .LBB15_93
.LBB15_87:
	s_or_b64 exec, exec, s[0:1]
	s_and_saveexec_b64 s[0:1], s[16:17]
	s_cbranch_execz .LBB15_83
.LBB15_88:
	v_lshlrev_b32_e32 v3, 3, v21
	ds_read_b64 v[3:4], v3
	ds_read_b64 v[5:6], v23 offset:6144
	v_mov_b32_e32 v7, s43
	s_waitcnt lgkmcnt(1)
	v_lshlrev_b64 v[3:4], 3, v[3:4]
	v_add_co_u32_e32 v3, vcc, s42, v3
	v_addc_co_u32_e32 v4, vcc, v7, v4, vcc
	v_add_co_u32_e32 v3, vcc, v3, v30
	v_addc_co_u32_e32 v4, vcc, 0, v4, vcc
	s_waitcnt lgkmcnt(0)
	global_store_dwordx2 v[3:4], v[5:6], off
	s_or_b64 exec, exec, s[0:1]
	s_and_saveexec_b64 s[0:1], s[18:19]
	s_cbranch_execnz .LBB15_84
.LBB15_89:
	s_or_b64 exec, exec, s[0:1]
	s_and_saveexec_b64 s[0:1], s[20:21]
	s_cbranch_execz .LBB15_85
.LBB15_90:
	v_lshlrev_b32_e32 v3, 3, v18
	ds_read_b64 v[3:4], v3
	ds_read_b64 v[5:6], v23 offset:14336
	v_mov_b32_e32 v7, s43
	s_waitcnt lgkmcnt(1)
	v_lshlrev_b64 v[3:4], 3, v[3:4]
	v_add_co_u32_e32 v3, vcc, s42, v3
	v_addc_co_u32_e32 v4, vcc, v7, v4, vcc
	v_add_co_u32_e32 v3, vcc, v3, v32
	v_addc_co_u32_e32 v4, vcc, 0, v4, vcc
	s_waitcnt lgkmcnt(0)
	global_store_dwordx2 v[3:4], v[5:6], off
	s_or_b64 exec, exec, s[0:1]
	s_and_saveexec_b64 s[0:1], s[22:23]
	s_cbranch_execnz .LBB15_86
.LBB15_91:
	s_or_b64 exec, exec, s[0:1]
	s_and_saveexec_b64 s[0:1], s[24:25]
	s_cbranch_execz .LBB15_93
.LBB15_92:
	v_lshlrev_b32_e32 v3, 3, v17
	ds_read_b64 v[3:4], v3
	ds_read_b64 v[5:6], v23 offset:22528
	v_mov_b32_e32 v7, s43
	s_waitcnt lgkmcnt(1)
	v_lshlrev_b64 v[3:4], 3, v[3:4]
	v_add_co_u32_e32 v3, vcc, s42, v3
	v_addc_co_u32_e32 v4, vcc, v7, v4, vcc
	v_add_co_u32_e32 v3, vcc, v3, v34
	v_addc_co_u32_e32 v4, vcc, 0, v4, vcc
	s_waitcnt lgkmcnt(0)
	global_store_dwordx2 v[3:4], v[5:6], off
.LBB15_93:
	s_or_b64 exec, exec, s[0:1]
	s_add_i32 s7, s7, -1
	s_cmp_eq_u32 s6, s7
	s_cselect_b64 s[0:1], -1, 0
	s_xor_b64 s[2:3], s[12:13], -1
	s_and_b64 s[2:3], s[2:3], s[0:1]
	s_and_saveexec_b64 s[0:1], s[2:3]
	s_cbranch_execz .LBB15_95
; %bb.94:
	ds_read_b64 v[3:4], v23
	v_add_co_u32_e32 v5, vcc, v15, v22
	v_addc_co_u32_e32 v6, vcc, 0, v16, vcc
	s_waitcnt lgkmcnt(0)
	v_add_co_u32_e32 v3, vcc, v5, v3
	v_addc_co_u32_e32 v4, vcc, v6, v4, vcc
	global_store_dwordx2 v23, v[3:4], s[46:47]
.LBB15_95:
	s_or_b64 exec, exec, s[0:1]
	s_mov_b64 s[0:1], 0
.LBB15_96:
	s_and_b64 vcc, exec, s[0:1]
	s_cbranch_vccz .LBB15_131
; %bb.97:
	s_mov_b32 s35, 0
	s_lshl_b64 s[8:9], s[34:35], 3
	v_mbcnt_hi_u32_b32 v19, -1, v19
	s_add_u32 s0, s36, s8
	v_lshlrev_b32_e32 v17, 3, v19
	v_add_co_u32_e32 v6, vcc, s0, v17
	s_load_dword s7, s[4:5], 0x50
	s_load_dword s0, s[4:5], 0x5c
	s_addc_u32 s1, s37, s9
	v_and_b32_e32 v21, 0x1c0, v0
	v_mul_u32_u24_e32 v3, 6, v21
	v_mov_b32_e32 v4, s1
	v_addc_co_u32_e32 v4, vcc, 0, v4, vcc
	v_lshlrev_b32_e32 v18, 3, v3
	s_add_u32 s1, s4, 0x50
	v_add_co_u32_e32 v15, vcc, v6, v18
	s_addc_u32 s2, s5, 0
	s_waitcnt lgkmcnt(0)
	s_lshr_b32 s3, s0, 16
	v_addc_co_u32_e32 v16, vcc, 0, v4, vcc
	s_cmp_lt_u32 s6, s7
	global_load_dwordx2 v[22:23], v[15:16], off
	s_cselect_b32 s0, 12, 18
	s_add_u32 s0, s1, s0
	v_mov_b32_e32 v5, 0
	s_addc_u32 s1, s2, 0
	global_load_ushort v6, v5, s[0:1]
	v_mul_u32_u24_e32 v20, 20, v0
	ds_write2_b32 v20, v5, v5 offset0:8 offset1:9
	ds_write2_b32 v20, v5, v5 offset0:10 offset1:11
	ds_write_b32 v20, v5 offset:48
	global_load_dwordx2 v[3:4], v[15:16], off offset:512
	global_load_dwordx2 v[13:14], v[15:16], off offset:1024
	;; [unrolled: 1-line block ×5, first 2 shown]
	v_mad_u32_u24 v24, v2, s3, v1
	s_lshl_b32 s0, -1, s49
	s_not_b32 s14, s0
	s_waitcnt vmcnt(0) lgkmcnt(0)
	s_barrier
	; wave barrier
	v_not_b32_e32 v2, v23
	v_not_b32_e32 v1, v22
	v_lshrrev_b64 v[15:16], s48, v[1:2]
	v_and_b32_e32 v15, s14, v15
	v_mad_u64_u32 v[22:23], s[0:1], v24, v6, v[0:1]
	v_and_b32_e32 v23, 1, v15
	v_add_co_u32_e32 v24, vcc, -1, v23
	v_mul_lo_u32 v16, v15, 36
	v_lshlrev_b32_e32 v6, 30, v15
	v_addc_co_u32_e64 v25, s[0:1], 0, -1, vcc
	v_cmp_ne_u32_e32 vcc, 0, v23
	v_cmp_gt_i64_e64 s[0:1], 0, v[5:6]
	v_not_b32_e32 v23, v6
	v_lshlrev_b32_e32 v6, 29, v15
	v_xor_b32_e32 v25, vcc_hi, v25
	v_xor_b32_e32 v24, vcc_lo, v24
	v_ashrrev_i32_e32 v23, 31, v23
	v_cmp_gt_i64_e32 vcc, 0, v[5:6]
	v_not_b32_e32 v26, v6
	v_lshlrev_b32_e32 v6, 28, v15
	v_lshrrev_b32_e32 v28, 6, v22
	v_and_b32_e32 v25, exec_hi, v25
	v_and_b32_e32 v24, exec_lo, v24
	v_xor_b32_e32 v27, s1, v23
	v_xor_b32_e32 v23, s0, v23
	v_ashrrev_i32_e32 v26, 31, v26
	v_cmp_gt_i64_e64 s[0:1], 0, v[5:6]
	v_not_b32_e32 v29, v6
	v_lshlrev_b32_e32 v6, 27, v15
	v_lshl_add_u32 v22, v28, 2, v16
	v_and_b32_e32 v16, v25, v27
	v_and_b32_e32 v23, v24, v23
	v_xor_b32_e32 v24, vcc_hi, v26
	v_xor_b32_e32 v25, vcc_lo, v26
	v_ashrrev_i32_e32 v26, 31, v29
	v_cmp_gt_i64_e32 vcc, 0, v[5:6]
	v_not_b32_e32 v27, v6
	v_lshlrev_b32_e32 v6, 26, v15
	v_and_b32_e32 v16, v16, v24
	v_and_b32_e32 v23, v23, v25
	v_xor_b32_e32 v24, s1, v26
	v_xor_b32_e32 v25, s0, v26
	v_ashrrev_i32_e32 v26, 31, v27
	v_cmp_gt_i64_e64 s[0:1], 0, v[5:6]
	v_not_b32_e32 v6, v6
	v_and_b32_e32 v16, v16, v24
	v_and_b32_e32 v23, v23, v25
	v_xor_b32_e32 v24, vcc_hi, v26
	v_xor_b32_e32 v25, vcc_lo, v26
	v_ashrrev_i32_e32 v6, 31, v6
	v_and_b32_e32 v16, v16, v24
	v_and_b32_e32 v23, v23, v25
	v_xor_b32_e32 v24, s1, v6
	v_xor_b32_e32 v6, s0, v6
	v_and_b32_e32 v23, v23, v6
	v_lshlrev_b32_e32 v6, 25, v15
	v_cmp_gt_i64_e32 vcc, 0, v[5:6]
	v_not_b32_e32 v6, v6
	v_ashrrev_i32_e32 v6, 31, v6
	v_and_b32_e32 v16, v16, v24
	v_xor_b32_e32 v24, vcc_hi, v6
	v_xor_b32_e32 v6, vcc_lo, v6
	v_and_b32_e32 v23, v23, v6
	v_lshlrev_b32_e32 v6, 24, v15
	v_cmp_gt_i64_e32 vcc, 0, v[5:6]
	v_not_b32_e32 v6, v6
	v_ashrrev_i32_e32 v6, 31, v6
	v_and_b32_e32 v16, v16, v24
	v_xor_b32_e32 v15, vcc_hi, v6
	v_xor_b32_e32 v6, vcc_lo, v6
	v_and_b32_e32 v16, v16, v15
	v_and_b32_e32 v15, v23, v6
	v_mbcnt_lo_u32_b32 v6, v15, 0
	v_mbcnt_hi_u32_b32 v23, v16, v6
	v_cmp_ne_u64_e32 vcc, 0, v[15:16]
	v_cmp_eq_u32_e64 s[0:1], 0, v23
	s_and_b64 s[2:3], vcc, s[0:1]
	s_and_saveexec_b64 s[0:1], s[2:3]
; %bb.98:
	v_bcnt_u32_b32 v6, v15, 0
	v_bcnt_u32_b32 v6, v16, v6
	ds_write_b32 v22, v6 offset:32
; %bb.99:
	s_or_b64 exec, exec, s[0:1]
	v_not_b32_e32 v4, v4
	v_not_b32_e32 v3, v3
	v_lshrrev_b64 v[15:16], s48, v[3:4]
	v_and_b32_e32 v15, s14, v15
	v_mul_lo_u32 v6, v15, 36
	v_and_b32_e32 v16, 1, v15
	; wave barrier
	v_lshl_add_u32 v25, v28, 2, v6
	v_add_co_u32_e32 v6, vcc, -1, v16
	v_addc_co_u32_e64 v26, s[0:1], 0, -1, vcc
	v_cmp_ne_u32_e32 vcc, 0, v16
	v_xor_b32_e32 v6, vcc_lo, v6
	v_xor_b32_e32 v16, vcc_hi, v26
	v_and_b32_e32 v26, exec_lo, v6
	v_lshlrev_b32_e32 v6, 30, v15
	v_cmp_gt_i64_e32 vcc, 0, v[5:6]
	v_not_b32_e32 v6, v6
	v_ashrrev_i32_e32 v6, 31, v6
	v_xor_b32_e32 v27, vcc_hi, v6
	v_xor_b32_e32 v6, vcc_lo, v6
	v_and_b32_e32 v26, v26, v6
	v_lshlrev_b32_e32 v6, 29, v15
	v_cmp_gt_i64_e32 vcc, 0, v[5:6]
	v_not_b32_e32 v6, v6
	v_and_b32_e32 v16, exec_hi, v16
	v_ashrrev_i32_e32 v6, 31, v6
	v_and_b32_e32 v16, v16, v27
	v_xor_b32_e32 v27, vcc_hi, v6
	v_xor_b32_e32 v6, vcc_lo, v6
	v_and_b32_e32 v26, v26, v6
	v_lshlrev_b32_e32 v6, 28, v15
	v_cmp_gt_i64_e32 vcc, 0, v[5:6]
	v_not_b32_e32 v6, v6
	v_ashrrev_i32_e32 v6, 31, v6
	v_and_b32_e32 v16, v16, v27
	v_xor_b32_e32 v27, vcc_hi, v6
	v_xor_b32_e32 v6, vcc_lo, v6
	v_and_b32_e32 v26, v26, v6
	v_lshlrev_b32_e32 v6, 27, v15
	v_cmp_gt_i64_e32 vcc, 0, v[5:6]
	v_not_b32_e32 v6, v6
	;; [unrolled: 8-line block ×5, first 2 shown]
	v_ashrrev_i32_e32 v5, 31, v5
	v_xor_b32_e32 v6, vcc_hi, v5
	v_xor_b32_e32 v5, vcc_lo, v5
	ds_read_b32 v24, v25 offset:32
	v_and_b32_e32 v16, v16, v27
	v_and_b32_e32 v5, v26, v5
	;; [unrolled: 1-line block ×3, first 2 shown]
	v_mbcnt_lo_u32_b32 v15, v5, 0
	v_mbcnt_hi_u32_b32 v26, v6, v15
	v_cmp_ne_u64_e32 vcc, 0, v[5:6]
	v_cmp_eq_u32_e64 s[0:1], 0, v26
	s_and_b64 s[2:3], vcc, s[0:1]
	; wave barrier
	s_and_saveexec_b64 s[0:1], s[2:3]
	s_cbranch_execz .LBB15_101
; %bb.100:
	v_bcnt_u32_b32 v5, v5, 0
	v_bcnt_u32_b32 v5, v6, v5
	s_waitcnt lgkmcnt(0)
	v_add_u32_e32 v5, v24, v5
	ds_write_b32 v25, v5 offset:32
.LBB15_101:
	s_or_b64 exec, exec, s[0:1]
	v_not_b32_e32 v6, v14
	v_not_b32_e32 v5, v13
	v_lshrrev_b64 v[13:14], s48, v[5:6]
	v_and_b32_e32 v15, s14, v13
	v_mul_lo_u32 v13, v15, 36
	v_and_b32_e32 v14, 1, v15
	v_add_co_u32_e32 v16, vcc, -1, v14
	v_addc_co_u32_e64 v30, s[0:1], 0, -1, vcc
	v_cmp_ne_u32_e32 vcc, 0, v14
	v_xor_b32_e32 v14, vcc_hi, v30
	v_lshl_add_u32 v29, v28, 2, v13
	v_mov_b32_e32 v13, 0
	v_and_b32_e32 v30, exec_hi, v14
	v_lshlrev_b32_e32 v14, 30, v15
	v_xor_b32_e32 v16, vcc_lo, v16
	v_cmp_gt_i64_e32 vcc, 0, v[13:14]
	v_not_b32_e32 v14, v14
	v_ashrrev_i32_e32 v14, 31, v14
	v_and_b32_e32 v16, exec_lo, v16
	v_xor_b32_e32 v31, vcc_hi, v14
	v_xor_b32_e32 v14, vcc_lo, v14
	v_and_b32_e32 v16, v16, v14
	v_lshlrev_b32_e32 v14, 29, v15
	v_cmp_gt_i64_e32 vcc, 0, v[13:14]
	v_not_b32_e32 v14, v14
	v_ashrrev_i32_e32 v14, 31, v14
	v_and_b32_e32 v30, v30, v31
	v_xor_b32_e32 v31, vcc_hi, v14
	v_xor_b32_e32 v14, vcc_lo, v14
	v_and_b32_e32 v16, v16, v14
	v_lshlrev_b32_e32 v14, 28, v15
	v_cmp_gt_i64_e32 vcc, 0, v[13:14]
	v_not_b32_e32 v14, v14
	v_ashrrev_i32_e32 v14, 31, v14
	v_and_b32_e32 v30, v30, v31
	;; [unrolled: 8-line block ×5, first 2 shown]
	v_xor_b32_e32 v31, vcc_hi, v14
	v_xor_b32_e32 v14, vcc_lo, v14
	v_and_b32_e32 v16, v16, v14
	v_lshlrev_b32_e32 v14, 24, v15
	v_cmp_gt_i64_e32 vcc, 0, v[13:14]
	v_not_b32_e32 v14, v14
	v_ashrrev_i32_e32 v14, 31, v14
	v_xor_b32_e32 v15, vcc_hi, v14
	v_xor_b32_e32 v14, vcc_lo, v14
	; wave barrier
	ds_read_b32 v27, v29 offset:32
	v_and_b32_e32 v30, v30, v31
	v_and_b32_e32 v14, v16, v14
	;; [unrolled: 1-line block ×3, first 2 shown]
	v_mbcnt_lo_u32_b32 v16, v14, 0
	v_mbcnt_hi_u32_b32 v30, v15, v16
	v_cmp_ne_u64_e32 vcc, 0, v[14:15]
	v_cmp_eq_u32_e64 s[0:1], 0, v30
	s_and_b64 s[2:3], vcc, s[0:1]
	; wave barrier
	s_and_saveexec_b64 s[0:1], s[2:3]
	s_cbranch_execz .LBB15_103
; %bb.102:
	v_bcnt_u32_b32 v14, v14, 0
	v_bcnt_u32_b32 v14, v15, v14
	s_waitcnt lgkmcnt(0)
	v_add_u32_e32 v14, v27, v14
	ds_write_b32 v29, v14 offset:32
.LBB15_103:
	s_or_b64 exec, exec, s[0:1]
	v_not_b32_e32 v10, v10
	v_not_b32_e32 v9, v9
	v_lshrrev_b64 v[14:15], s48, v[9:10]
	v_and_b32_e32 v15, s14, v14
	v_mul_lo_u32 v14, v15, 36
	v_and_b32_e32 v16, 1, v15
	; wave barrier
	v_lshl_add_u32 v32, v28, 2, v14
	v_add_co_u32_e32 v14, vcc, -1, v16
	v_addc_co_u32_e64 v33, s[0:1], 0, -1, vcc
	v_cmp_ne_u32_e32 vcc, 0, v16
	v_xor_b32_e32 v14, vcc_lo, v14
	v_xor_b32_e32 v16, vcc_hi, v33
	v_and_b32_e32 v33, exec_lo, v14
	v_lshlrev_b32_e32 v14, 30, v15
	v_cmp_gt_i64_e32 vcc, 0, v[13:14]
	v_not_b32_e32 v14, v14
	v_ashrrev_i32_e32 v14, 31, v14
	v_xor_b32_e32 v34, vcc_hi, v14
	v_xor_b32_e32 v14, vcc_lo, v14
	v_and_b32_e32 v33, v33, v14
	v_lshlrev_b32_e32 v14, 29, v15
	v_cmp_gt_i64_e32 vcc, 0, v[13:14]
	v_not_b32_e32 v14, v14
	v_and_b32_e32 v16, exec_hi, v16
	v_ashrrev_i32_e32 v14, 31, v14
	v_and_b32_e32 v16, v16, v34
	v_xor_b32_e32 v34, vcc_hi, v14
	v_xor_b32_e32 v14, vcc_lo, v14
	v_and_b32_e32 v33, v33, v14
	v_lshlrev_b32_e32 v14, 28, v15
	v_cmp_gt_i64_e32 vcc, 0, v[13:14]
	v_not_b32_e32 v14, v14
	v_ashrrev_i32_e32 v14, 31, v14
	v_and_b32_e32 v16, v16, v34
	v_xor_b32_e32 v34, vcc_hi, v14
	v_xor_b32_e32 v14, vcc_lo, v14
	v_and_b32_e32 v33, v33, v14
	v_lshlrev_b32_e32 v14, 27, v15
	v_cmp_gt_i64_e32 vcc, 0, v[13:14]
	v_not_b32_e32 v14, v14
	;; [unrolled: 8-line block ×5, first 2 shown]
	v_ashrrev_i32_e32 v13, 31, v13
	v_xor_b32_e32 v14, vcc_hi, v13
	v_xor_b32_e32 v13, vcc_lo, v13
	ds_read_b32 v31, v32 offset:32
	v_and_b32_e32 v16, v16, v34
	v_and_b32_e32 v13, v33, v13
	;; [unrolled: 1-line block ×3, first 2 shown]
	v_mbcnt_lo_u32_b32 v15, v13, 0
	v_mbcnt_hi_u32_b32 v33, v14, v15
	v_cmp_ne_u64_e32 vcc, 0, v[13:14]
	v_cmp_eq_u32_e64 s[0:1], 0, v33
	s_and_b64 s[2:3], vcc, s[0:1]
	; wave barrier
	s_and_saveexec_b64 s[0:1], s[2:3]
	s_cbranch_execz .LBB15_105
; %bb.104:
	v_bcnt_u32_b32 v13, v13, 0
	v_bcnt_u32_b32 v13, v14, v13
	s_waitcnt lgkmcnt(0)
	v_add_u32_e32 v13, v31, v13
	ds_write_b32 v32, v13 offset:32
.LBB15_105:
	s_or_b64 exec, exec, s[0:1]
	v_not_b32_e32 v12, v12
	v_not_b32_e32 v11, v11
	v_lshrrev_b64 v[13:14], s48, v[11:12]
	v_mov_b32_e32 v15, 0
	v_and_b32_e32 v13, s14, v13
	v_mul_lo_u32 v14, v13, 36
	v_and_b32_e32 v16, 1, v13
	; wave barrier
	v_lshl_add_u32 v35, v28, 2, v14
	v_add_co_u32_e32 v14, vcc, -1, v16
	v_addc_co_u32_e64 v36, s[0:1], 0, -1, vcc
	v_cmp_ne_u32_e32 vcc, 0, v16
	v_xor_b32_e32 v16, vcc_hi, v36
	v_and_b32_e32 v36, exec_hi, v16
	v_lshlrev_b32_e32 v16, 30, v13
	v_xor_b32_e32 v14, vcc_lo, v14
	v_cmp_gt_i64_e32 vcc, 0, v[15:16]
	v_not_b32_e32 v16, v16
	v_ashrrev_i32_e32 v16, 31, v16
	v_and_b32_e32 v14, exec_lo, v14
	v_xor_b32_e32 v37, vcc_hi, v16
	v_xor_b32_e32 v16, vcc_lo, v16
	v_and_b32_e32 v14, v14, v16
	v_lshlrev_b32_e32 v16, 29, v13
	v_cmp_gt_i64_e32 vcc, 0, v[15:16]
	v_not_b32_e32 v16, v16
	v_ashrrev_i32_e32 v16, 31, v16
	v_and_b32_e32 v36, v36, v37
	v_xor_b32_e32 v37, vcc_hi, v16
	v_xor_b32_e32 v16, vcc_lo, v16
	v_and_b32_e32 v14, v14, v16
	v_lshlrev_b32_e32 v16, 28, v13
	v_cmp_gt_i64_e32 vcc, 0, v[15:16]
	v_not_b32_e32 v16, v16
	v_ashrrev_i32_e32 v16, 31, v16
	v_and_b32_e32 v36, v36, v37
	;; [unrolled: 8-line block ×5, first 2 shown]
	v_xor_b32_e32 v37, vcc_hi, v16
	v_xor_b32_e32 v16, vcc_lo, v16
	v_and_b32_e32 v36, v36, v37
	v_and_b32_e32 v37, v14, v16
	v_lshlrev_b32_e32 v16, 24, v13
	v_cmp_gt_i64_e32 vcc, 0, v[15:16]
	v_not_b32_e32 v13, v16
	v_ashrrev_i32_e32 v13, 31, v13
	v_xor_b32_e32 v14, vcc_hi, v13
	v_xor_b32_e32 v13, vcc_lo, v13
	ds_read_b32 v34, v35 offset:32
	v_and_b32_e32 v13, v37, v13
	v_and_b32_e32 v14, v36, v14
	v_mbcnt_lo_u32_b32 v16, v13, 0
	v_mbcnt_hi_u32_b32 v36, v14, v16
	v_cmp_ne_u64_e32 vcc, 0, v[13:14]
	v_cmp_eq_u32_e64 s[0:1], 0, v36
	s_and_b64 s[2:3], vcc, s[0:1]
	; wave barrier
	s_and_saveexec_b64 s[0:1], s[2:3]
	s_cbranch_execz .LBB15_107
; %bb.106:
	v_bcnt_u32_b32 v13, v13, 0
	v_bcnt_u32_b32 v13, v14, v13
	s_waitcnt lgkmcnt(0)
	v_add_u32_e32 v13, v34, v13
	ds_write_b32 v35, v13 offset:32
.LBB15_107:
	s_or_b64 exec, exec, s[0:1]
	v_not_b32_e32 v14, v8
	v_not_b32_e32 v13, v7
	v_lshrrev_b64 v[7:8], s48, v[13:14]
	v_and_b32_e32 v7, s14, v7
	v_mul_lo_u32 v8, v7, 36
	v_and_b32_e32 v16, 1, v7
	; wave barrier
	v_lshl_add_u32 v37, v28, 2, v8
	v_add_co_u32_e32 v8, vcc, -1, v16
	v_addc_co_u32_e64 v38, s[0:1], 0, -1, vcc
	v_cmp_ne_u32_e32 vcc, 0, v16
	v_xor_b32_e32 v16, vcc_hi, v38
	v_and_b32_e32 v38, exec_hi, v16
	v_lshlrev_b32_e32 v16, 30, v7
	v_xor_b32_e32 v8, vcc_lo, v8
	v_cmp_gt_i64_e32 vcc, 0, v[15:16]
	v_not_b32_e32 v16, v16
	v_ashrrev_i32_e32 v16, 31, v16
	v_and_b32_e32 v8, exec_lo, v8
	v_xor_b32_e32 v39, vcc_hi, v16
	v_xor_b32_e32 v16, vcc_lo, v16
	v_and_b32_e32 v8, v8, v16
	v_lshlrev_b32_e32 v16, 29, v7
	v_cmp_gt_i64_e32 vcc, 0, v[15:16]
	v_not_b32_e32 v16, v16
	v_ashrrev_i32_e32 v16, 31, v16
	v_and_b32_e32 v38, v38, v39
	v_xor_b32_e32 v39, vcc_hi, v16
	v_xor_b32_e32 v16, vcc_lo, v16
	v_and_b32_e32 v8, v8, v16
	v_lshlrev_b32_e32 v16, 28, v7
	v_cmp_gt_i64_e32 vcc, 0, v[15:16]
	v_not_b32_e32 v16, v16
	v_ashrrev_i32_e32 v16, 31, v16
	v_and_b32_e32 v38, v38, v39
	;; [unrolled: 8-line block ×5, first 2 shown]
	v_xor_b32_e32 v39, vcc_hi, v16
	v_xor_b32_e32 v16, vcc_lo, v16
	v_and_b32_e32 v38, v38, v39
	v_and_b32_e32 v39, v8, v16
	v_lshlrev_b32_e32 v16, 24, v7
	v_cmp_gt_i64_e32 vcc, 0, v[15:16]
	v_not_b32_e32 v7, v16
	v_ashrrev_i32_e32 v7, 31, v7
	v_xor_b32_e32 v8, vcc_hi, v7
	v_xor_b32_e32 v7, vcc_lo, v7
	ds_read_b32 v28, v37 offset:32
	v_and_b32_e32 v7, v39, v7
	v_and_b32_e32 v8, v38, v8
	v_mbcnt_lo_u32_b32 v15, v7, 0
	v_mbcnt_hi_u32_b32 v38, v8, v15
	v_cmp_ne_u64_e32 vcc, 0, v[7:8]
	v_cmp_eq_u32_e64 s[0:1], 0, v38
	s_and_b64 s[2:3], vcc, s[0:1]
	; wave barrier
	s_and_saveexec_b64 s[0:1], s[2:3]
	s_cbranch_execz .LBB15_109
; %bb.108:
	v_bcnt_u32_b32 v7, v7, 0
	v_bcnt_u32_b32 v7, v8, v7
	s_waitcnt lgkmcnt(0)
	v_add_u32_e32 v7, v28, v7
	ds_write_b32 v37, v7 offset:32
.LBB15_109:
	s_or_b64 exec, exec, s[0:1]
	; wave barrier
	s_waitcnt lgkmcnt(0)
	s_barrier
	ds_read2_b32 v[15:16], v20 offset0:8 offset1:9
	ds_read2_b32 v[7:8], v20 offset0:10 offset1:11
	ds_read_b32 v39, v20 offset:48
	v_min_u32_e32 v21, 0x1c0, v21
	v_or_b32_e32 v21, 63, v21
	s_waitcnt lgkmcnt(1)
	v_add3_u32 v40, v16, v15, v7
	s_waitcnt lgkmcnt(0)
	v_add3_u32 v39, v40, v8, v39
	v_and_b32_e32 v40, 15, v19
	v_cmp_ne_u32_e32 vcc, 0, v40
	v_mov_b32_dpp v41, v39 row_shr:1 row_mask:0xf bank_mask:0xf
	v_cndmask_b32_e32 v41, 0, v41, vcc
	v_add_u32_e32 v39, v41, v39
	v_cmp_lt_u32_e32 vcc, 1, v40
	s_nop 0
	v_mov_b32_dpp v41, v39 row_shr:2 row_mask:0xf bank_mask:0xf
	v_cndmask_b32_e32 v41, 0, v41, vcc
	v_add_u32_e32 v39, v39, v41
	v_cmp_lt_u32_e32 vcc, 3, v40
	s_nop 0
	;; [unrolled: 5-line block ×3, first 2 shown]
	v_mov_b32_dpp v41, v39 row_shr:8 row_mask:0xf bank_mask:0xf
	v_cndmask_b32_e32 v40, 0, v41, vcc
	v_add_u32_e32 v39, v39, v40
	v_bfe_i32 v41, v19, 4, 1
	v_cmp_lt_u32_e32 vcc, 31, v19
	v_mov_b32_dpp v40, v39 row_bcast:15 row_mask:0xf bank_mask:0xf
	v_and_b32_e32 v40, v41, v40
	v_add_u32_e32 v39, v39, v40
	s_nop 1
	v_mov_b32_dpp v40, v39 row_bcast:31 row_mask:0xf bank_mask:0xf
	v_cndmask_b32_e32 v40, 0, v40, vcc
	v_add_u32_e32 v39, v39, v40
	v_lshrrev_b32_e32 v40, 6, v0
	v_cmp_eq_u32_e32 vcc, v0, v21
	s_and_saveexec_b64 s[0:1], vcc
; %bb.110:
	v_lshlrev_b32_e32 v21, 2, v40
	ds_write_b32 v21, v39
; %bb.111:
	s_or_b64 exec, exec, s[0:1]
	v_cmp_gt_u32_e32 vcc, 8, v0
	s_waitcnt lgkmcnt(0)
	s_barrier
	s_and_saveexec_b64 s[0:1], vcc
	s_cbranch_execz .LBB15_113
; %bb.112:
	v_lshlrev_b32_e32 v21, 2, v0
	ds_read_b32 v41, v21
	v_and_b32_e32 v42, 7, v19
	v_cmp_ne_u32_e32 vcc, 0, v42
	s_waitcnt lgkmcnt(0)
	v_mov_b32_dpp v43, v41 row_shr:1 row_mask:0xf bank_mask:0xf
	v_cndmask_b32_e32 v43, 0, v43, vcc
	v_add_u32_e32 v41, v43, v41
	v_cmp_lt_u32_e32 vcc, 1, v42
	s_nop 0
	v_mov_b32_dpp v43, v41 row_shr:2 row_mask:0xf bank_mask:0xf
	v_cndmask_b32_e32 v43, 0, v43, vcc
	v_add_u32_e32 v41, v41, v43
	v_cmp_lt_u32_e32 vcc, 3, v42
	s_nop 0
	v_mov_b32_dpp v43, v41 row_shr:4 row_mask:0xf bank_mask:0xf
	v_cndmask_b32_e32 v42, 0, v43, vcc
	v_add_u32_e32 v41, v41, v42
	ds_write_b32 v21, v41
.LBB15_113:
	s_or_b64 exec, exec, s[0:1]
	v_cmp_lt_u32_e32 vcc, 63, v0
	v_mov_b32_e32 v21, 0
	s_waitcnt lgkmcnt(0)
	s_barrier
	s_and_saveexec_b64 s[0:1], vcc
; %bb.114:
	v_lshl_add_u32 v21, v40, 2, -4
	ds_read_b32 v21, v21
; %bb.115:
	s_or_b64 exec, exec, s[0:1]
	v_add_u32_e32 v40, -1, v19
	v_and_b32_e32 v41, 64, v19
	v_cmp_lt_i32_e32 vcc, v40, v41
	v_cndmask_b32_e32 v40, v40, v19, vcc
	s_waitcnt lgkmcnt(0)
	v_add_u32_e32 v39, v21, v39
	v_lshlrev_b32_e32 v40, 2, v40
	ds_bpermute_b32 v39, v40, v39
	v_cmp_eq_u32_e32 vcc, 0, v19
	s_movk_i32 s0, 0xff
	s_movk_i32 s2, 0x100
	s_waitcnt lgkmcnt(0)
	v_cndmask_b32_e32 v19, v39, v21, vcc
	v_cmp_ne_u32_e32 vcc, 0, v0
	v_cndmask_b32_e32 v19, 0, v19, vcc
	v_add_u32_e32 v15, v19, v15
	v_add_u32_e32 v16, v15, v16
	;; [unrolled: 1-line block ×4, first 2 shown]
	ds_write2_b32 v20, v19, v15 offset0:8 offset1:9
	ds_write2_b32 v20, v16, v7 offset0:10 offset1:11
	ds_write_b32 v20, v8 offset:48
	s_waitcnt lgkmcnt(0)
	s_barrier
	ds_read_b32 v16, v22 offset:32
	ds_read_b32 v19, v25 offset:32
	;; [unrolled: 1-line block ×6, first 2 shown]
	v_mov_b32_e32 v7, 0
	v_cmp_lt_u32_e32 vcc, s0, v0
	v_mov_b32_e32 v8, 0
	v_cmp_gt_u32_e64 s[0:1], s2, v0
                                        ; implicit-def: $vgpr15
	s_and_saveexec_b64 s[4:5], s[0:1]
	s_cbranch_execz .LBB15_119
; %bb.116:
	v_mul_u32_u24_e32 v7, 36, v0
	ds_read_b32 v7, v7 offset:32
	v_add_u32_e32 v15, 1, v0
	v_cmp_ne_u32_e64 s[2:3], s2, v15
	v_mov_b32_e32 v8, 0xc00
	s_and_saveexec_b64 s[10:11], s[2:3]
; %bb.117:
	v_mul_u32_u24_e32 v8, 36, v15
	ds_read_b32 v8, v8 offset:32
; %bb.118:
	s_or_b64 exec, exec, s[10:11]
	s_waitcnt lgkmcnt(0)
	v_sub_u32_e32 v15, v8, v7
	v_mov_b32_e32 v8, 0
.LBB15_119:
	s_or_b64 exec, exec, s[4:5]
	v_lshlrev_b32_e32 v23, 3, v23
	s_waitcnt lgkmcnt(5)
	v_lshl_add_u32 v16, v16, 3, v23
	s_waitcnt lgkmcnt(0)
	s_barrier
	ds_write_b64 v16, v[1:2] offset:2048
	v_lshlrev_b32_e32 v1, 3, v26
	v_lshlrev_b32_e32 v2, 3, v24
	;; [unrolled: 1-line block ×3, first 2 shown]
	v_add3_u32 v19, v1, v2, v19
	ds_write_b64 v19, v[3:4] offset:2048
	v_lshlrev_b32_e32 v1, 3, v30
	v_lshlrev_b32_e32 v2, 3, v27
	;; [unrolled: 1-line block ×3, first 2 shown]
	v_add3_u32 v20, v1, v2, v3
	v_lshlrev_b32_e32 v1, 3, v33
	v_lshlrev_b32_e32 v2, 3, v31
	;; [unrolled: 1-line block ×3, first 2 shown]
	v_add3_u32 v21, v1, v2, v3
	v_lshlrev_b32_e32 v1, 3, v36
	v_lshlrev_b32_e32 v2, 3, v34
	v_lshlrev_b32_e32 v3, 3, v25
	ds_write_b64 v20, v[5:6] offset:2048
	ds_write_b64 v21, v[9:10] offset:2048
	v_add3_u32 v10, v1, v2, v3
	v_lshlrev_b32_e32 v1, 3, v38
	v_lshlrev_b32_e32 v2, 3, v28
	;; [unrolled: 1-line block ×3, first 2 shown]
	ds_write_b64 v10, v[11:12] offset:2048
	v_add3_u32 v11, v1, v2, v3
	v_mov_b32_e32 v2, 0
	v_lshlrev_b32_e32 v9, 3, v0
	ds_write_b64 v11, v[13:14] offset:2048
	s_waitcnt lgkmcnt(0)
	s_barrier
	s_and_saveexec_b64 s[2:3], s[0:1]
	s_cbranch_execz .LBB15_129
; %bb.120:
	v_lshl_add_u32 v1, s6, 8, v0
	v_lshlrev_b64 v[3:4], 2, v[1:2]
	v_mov_b32_e32 v12, s31
	v_add_co_u32_e64 v3, s[0:1], s30, v3
	v_addc_co_u32_e64 v4, s[0:1], v12, v4, s[0:1]
	v_or_b32_e32 v1, 2.0, v15
	s_mov_b64 s[4:5], 0
	s_brev_b32 s15, -4
	s_mov_b32 s16, s6
	v_mov_b32_e32 v13, 0
	global_store_dword v[3:4], v1, off
                                        ; implicit-def: $sgpr0_sgpr1
	s_branch .LBB15_123
.LBB15_121:                             ;   in Loop: Header=BB15_123 Depth=1
	s_or_b64 exec, exec, s[12:13]
.LBB15_122:                             ;   in Loop: Header=BB15_123 Depth=1
	s_or_b64 exec, exec, s[10:11]
	v_and_b32_e32 v5, 0x3fffffff, v1
	v_add_u32_e32 v13, v5, v13
	v_cmp_gt_i32_e64 s[0:1], -2.0, v1
	s_and_b64 s[10:11], exec, s[0:1]
	s_or_b64 s[4:5], s[10:11], s[4:5]
	s_andn2_b64 exec, exec, s[4:5]
	s_cbranch_execz .LBB15_128
.LBB15_123:                             ; =>This Loop Header: Depth=1
                                        ;     Child Loop BB15_126 Depth 2
	s_or_b64 s[0:1], s[0:1], exec
	s_cmp_eq_u32 s16, 0
	s_cbranch_scc1 .LBB15_127
; %bb.124:                              ;   in Loop: Header=BB15_123 Depth=1
	s_add_i32 s16, s16, -1
	v_lshl_or_b32 v1, s16, 8, v0
	v_lshlrev_b64 v[5:6], 2, v[1:2]
	v_add_co_u32_e64 v5, s[0:1], s30, v5
	v_addc_co_u32_e64 v6, s[0:1], v12, v6, s[0:1]
	global_load_dword v1, v[5:6], off glc
	s_waitcnt vmcnt(0)
	v_cmp_gt_u32_e64 s[0:1], 2.0, v1
	s_and_saveexec_b64 s[10:11], s[0:1]
	s_cbranch_execz .LBB15_122
; %bb.125:                              ;   in Loop: Header=BB15_123 Depth=1
	s_mov_b64 s[12:13], 0
.LBB15_126:                             ;   Parent Loop BB15_123 Depth=1
                                        ; =>  This Inner Loop Header: Depth=2
	global_load_dword v1, v[5:6], off glc
	s_waitcnt vmcnt(0)
	v_cmp_lt_u32_e64 s[0:1], s15, v1
	s_or_b64 s[12:13], s[0:1], s[12:13]
	s_andn2_b64 exec, exec, s[12:13]
	s_cbranch_execnz .LBB15_126
	s_branch .LBB15_121
.LBB15_127:                             ;   in Loop: Header=BB15_123 Depth=1
                                        ; implicit-def: $sgpr16
	s_and_b64 s[10:11], exec, s[0:1]
	s_or_b64 s[4:5], s[10:11], s[4:5]
	s_andn2_b64 exec, exec, s[4:5]
	s_cbranch_execnz .LBB15_123
.LBB15_128:
	s_or_b64 exec, exec, s[4:5]
	v_add_u32_e32 v0, v13, v15
	v_or_b32_e32 v0, 0x80000000, v0
	global_store_dword v[3:4], v0, off
	global_load_dwordx2 v[0:1], v9, s[44:45]
	v_sub_co_u32_e64 v2, s[0:1], v13, v7
	v_subb_co_u32_e64 v3, s[0:1], 0, v8, s[0:1]
	s_waitcnt vmcnt(0)
	v_add_co_u32_e64 v0, s[0:1], v2, v0
	v_addc_co_u32_e64 v1, s[0:1], v3, v1, s[0:1]
	ds_write_b64 v9, v[0:1]
.LBB15_129:
	s_or_b64 exec, exec, s[2:3]
	s_waitcnt lgkmcnt(0)
	s_barrier
	ds_read2st64_b64 v[0:3], v9 offset0:4 offset1:12
	ds_read2st64_b64 v[22:25], v9 offset0:20 offset1:28
	v_or_b32_e32 v33, 0x4000, v9
	v_or_b32_e32 v34, 0x5000, v9
	s_waitcnt lgkmcnt(1)
	v_lshrrev_b64 v[4:5], s48, v[0:1]
	s_waitcnt lgkmcnt(0)
	v_lshrrev_b64 v[12:13], s48, v[22:23]
	v_and_b32_e32 v4, s14, v4
	v_lshlrev_b32_e32 v14, 3, v4
	v_lshrrev_b64 v[4:5], s48, v[2:3]
	ds_read_b64 v[5:6], v14
	v_and_b32_e32 v4, s14, v4
	v_lshlrev_b32_e32 v30, 3, v4
	v_and_b32_e32 v4, s14, v12
	v_lshrrev_b64 v[12:13], s48, v[24:25]
	v_lshlrev_b32_e32 v31, 3, v4
	v_and_b32_e32 v4, s14, v12
	v_lshlrev_b32_e32 v32, 3, v4
	s_waitcnt lgkmcnt(0)
	v_lshlrev_b64 v[4:5], 3, v[5:6]
	v_mov_b32_e32 v6, s39
	v_add_co_u32_e64 v4, s[0:1], s38, v4
	ds_read_b64 v[12:13], v30
	ds_read_b64 v[26:27], v31
	;; [unrolled: 1-line block ×3, first 2 shown]
	v_addc_co_u32_e64 v5, s[0:1], v6, v5, s[0:1]
	v_add_co_u32_e64 v4, s[0:1], v4, v9
	v_not_b32_e32 v1, v1
	v_not_b32_e32 v0, v0
	v_addc_co_u32_e64 v5, s[0:1], 0, v5, s[0:1]
	global_store_dwordx2 v[4:5], v[0:1], off
	v_not_b32_e32 v1, v3
	v_not_b32_e32 v0, v2
	s_waitcnt lgkmcnt(2)
	v_lshlrev_b64 v[2:3], 3, v[12:13]
	v_mov_b32_e32 v4, s39
	v_add_co_u32_e64 v2, s[0:1], s38, v2
	v_addc_co_u32_e64 v3, s[0:1], v4, v3, s[0:1]
	v_or_b32_e32 v6, 0x1000, v9
	v_add_co_u32_e64 v2, s[0:1], v2, v6
	v_addc_co_u32_e64 v3, s[0:1], 0, v3, s[0:1]
	global_store_dwordx2 v[2:3], v[0:1], off
	s_waitcnt lgkmcnt(1)
	v_lshlrev_b64 v[2:3], 3, v[26:27]
	v_or_b32_e32 v26, 0x2000, v9
	v_add_co_u32_e64 v2, s[0:1], s38, v2
	v_addc_co_u32_e64 v3, s[0:1], v4, v3, s[0:1]
	v_add_co_u32_e64 v2, s[0:1], v2, v26
	v_not_b32_e32 v1, v23
	v_not_b32_e32 v0, v22
	v_addc_co_u32_e64 v3, s[0:1], 0, v3, s[0:1]
	global_store_dwordx2 v[2:3], v[0:1], off
	s_waitcnt lgkmcnt(0)
	v_lshlrev_b64 v[0:1], 3, v[28:29]
	v_mov_b32_e32 v2, s39
	v_add_co_u32_e64 v12, s[0:1], s38, v0
	v_addc_co_u32_e64 v13, s[0:1], v2, v1, s[0:1]
	ds_read2st64_b64 v[0:3], v9 offset0:36 offset1:44
	v_or_b32_e32 v27, 0x3000, v9
	v_add_co_u32_e64 v12, s[0:1], v12, v27
	v_not_b32_e32 v5, v25
	s_waitcnt lgkmcnt(0)
	v_lshrrev_b64 v[22:23], s48, v[0:1]
	v_not_b32_e32 v4, v24
	v_addc_co_u32_e64 v13, s[0:1], 0, v13, s[0:1]
	global_store_dwordx2 v[12:13], v[4:5], off
	v_and_b32_e32 v4, s14, v22
	v_lshlrev_b32_e32 v28, 3, v4
	ds_read_b64 v[4:5], v28
	v_lshrrev_b64 v[12:13], s48, v[2:3]
	v_mov_b32_e32 v22, s39
	v_and_b32_e32 v12, s14, v12
	v_lshlrev_b32_e32 v29, 3, v12
	ds_read_b64 v[12:13], v29
	s_waitcnt lgkmcnt(1)
	v_lshlrev_b64 v[4:5], 3, v[4:5]
	v_not_b32_e32 v1, v1
	v_add_co_u32_e64 v4, s[0:1], s38, v4
	v_addc_co_u32_e64 v5, s[0:1], v22, v5, s[0:1]
	v_add_co_u32_e64 v4, s[0:1], v4, v33
	v_not_b32_e32 v0, v0
	v_addc_co_u32_e64 v5, s[0:1], 0, v5, s[0:1]
	global_store_dwordx2 v[4:5], v[0:1], off
	v_not_b32_e32 v1, v3
	v_not_b32_e32 v0, v2
	s_waitcnt lgkmcnt(0)
	v_lshlrev_b64 v[2:3], 3, v[12:13]
	v_mov_b32_e32 v4, s39
	v_add_co_u32_e64 v2, s[0:1], s38, v2
	v_addc_co_u32_e64 v3, s[0:1], v4, v3, s[0:1]
	v_add_co_u32_e64 v2, s[0:1], v2, v34
	v_addc_co_u32_e64 v3, s[0:1], 0, v3, s[0:1]
	s_add_u32 s0, s40, s8
	s_addc_u32 s1, s41, s9
	global_store_dwordx2 v[2:3], v[0:1], off
	v_mov_b32_e32 v0, s1
	v_add_co_u32_e64 v1, s[0:1], s0, v17
	v_addc_co_u32_e64 v2, s[0:1], 0, v0, s[0:1]
	v_add_co_u32_e64 v0, s[0:1], v1, v18
	v_addc_co_u32_e64 v1, s[0:1], 0, v2, s[0:1]
	global_load_dwordx2 v[2:3], v[0:1], off
	global_load_dwordx2 v[4:5], v[0:1], off offset:512
	global_load_dwordx2 v[12:13], v[0:1], off offset:1024
	;; [unrolled: 1-line block ×5, first 2 shown]
	s_waitcnt vmcnt(0)
	s_barrier
	s_add_i32 s7, s7, -1
	s_cmp_eq_u32 s6, s7
	ds_write_b64 v16, v[2:3] offset:2048
	ds_write_b64 v19, v[4:5] offset:2048
	;; [unrolled: 1-line block ×6, first 2 shown]
	s_waitcnt lgkmcnt(0)
	s_barrier
	ds_read_b64 v[4:5], v14
	ds_read2st64_b64 v[0:3], v9 offset0:4 offset1:12
	ds_read_b64 v[10:11], v30
	ds_read_b64 v[12:13], v31
	;; [unrolled: 1-line block ×3, first 2 shown]
	s_waitcnt lgkmcnt(4)
	v_lshlrev_b64 v[4:5], 3, v[4:5]
	v_mov_b32_e32 v14, s43
	v_add_co_u32_e64 v4, s[0:1], s42, v4
	v_addc_co_u32_e64 v5, s[0:1], v14, v5, s[0:1]
	v_add_co_u32_e64 v4, s[0:1], v4, v9
	v_addc_co_u32_e64 v5, s[0:1], 0, v5, s[0:1]
	s_waitcnt lgkmcnt(3)
	global_store_dwordx2 v[4:5], v[0:1], off
	s_waitcnt lgkmcnt(2)
	v_lshlrev_b64 v[0:1], 3, v[10:11]
	v_mov_b32_e32 v4, s43
	v_add_co_u32_e64 v0, s[0:1], s42, v0
	v_addc_co_u32_e64 v1, s[0:1], v4, v1, s[0:1]
	v_add_co_u32_e64 v0, s[0:1], v0, v6
	v_addc_co_u32_e64 v1, s[0:1], 0, v1, s[0:1]
	s_waitcnt lgkmcnt(1)
	v_lshlrev_b64 v[4:5], 3, v[12:13]
	global_store_dwordx2 v[0:1], v[2:3], off
	ds_read2st64_b64 v[0:3], v9 offset0:20 offset1:28
	v_mov_b32_e32 v6, s43
	v_add_co_u32_e64 v4, s[0:1], s42, v4
	v_addc_co_u32_e64 v5, s[0:1], v6, v5, s[0:1]
	v_add_co_u32_e64 v4, s[0:1], v4, v26
	v_addc_co_u32_e64 v5, s[0:1], 0, v5, s[0:1]
	s_waitcnt lgkmcnt(0)
	global_store_dwordx2 v[4:5], v[0:1], off
	v_lshlrev_b64 v[0:1], 3, v[16:17]
	v_mov_b32_e32 v4, s43
	v_add_co_u32_e64 v0, s[0:1], s42, v0
	v_addc_co_u32_e64 v1, s[0:1], v4, v1, s[0:1]
	ds_read_b64 v[4:5], v28
	v_add_co_u32_e64 v0, s[0:1], v0, v27
	v_addc_co_u32_e64 v1, s[0:1], 0, v1, s[0:1]
	global_store_dwordx2 v[0:1], v[2:3], off
	s_waitcnt lgkmcnt(0)
	v_lshlrev_b64 v[4:5], 3, v[4:5]
	ds_read2st64_b64 v[0:3], v9 offset0:36 offset1:44
	ds_read_b64 v[10:11], v29
	v_add_co_u32_e64 v4, s[0:1], s42, v4
	v_addc_co_u32_e64 v5, s[0:1], v6, v5, s[0:1]
	v_add_co_u32_e64 v4, s[0:1], v4, v33
	v_addc_co_u32_e64 v5, s[0:1], 0, v5, s[0:1]
	s_waitcnt lgkmcnt(1)
	global_store_dwordx2 v[4:5], v[0:1], off
	s_waitcnt lgkmcnt(0)
	v_lshlrev_b64 v[0:1], 3, v[10:11]
	v_mov_b32_e32 v4, s43
	v_add_co_u32_e64 v0, s[0:1], s42, v0
	v_addc_co_u32_e64 v1, s[0:1], v4, v1, s[0:1]
	v_add_co_u32_e64 v0, s[0:1], v0, v34
	v_addc_co_u32_e64 v1, s[0:1], 0, v1, s[0:1]
	s_cselect_b64 s[0:1], -1, 0
	s_xor_b64 s[2:3], vcc, -1
	s_and_b64 s[0:1], s[2:3], s[0:1]
	global_store_dwordx2 v[0:1], v[2:3], off
	s_and_saveexec_b64 s[2:3], s[0:1]
	s_cbranch_execz .LBB15_131
; %bb.130:
	ds_read_b64 v[0:1], v9
	v_add_co_u32_e32 v2, vcc, v7, v15
	v_addc_co_u32_e32 v3, vcc, 0, v8, vcc
	s_waitcnt lgkmcnt(0)
	v_add_co_u32_e32 v0, vcc, v2, v0
	v_addc_co_u32_e32 v1, vcc, v3, v1, vcc
	global_store_dwordx2 v9, v[0:1], s[46:47]
.LBB15_131:
	s_endpgm
	.section	.rodata,"a",@progbits
	.p2align	6, 0x0
	.amdhsa_kernel _ZN7rocprim17ROCPRIM_304000_NS6detail25onesweep_iteration_kernelINS1_34wrapped_radix_sort_onesweep_configINS0_14default_configEmN2at4cuda3cub6detail10OpaqueTypeILi8EEEEELb1EPmSC_PSA_SD_mNS0_19identity_decomposerEEEvT1_T2_T3_T4_jPT5_SK_PNS1_23onesweep_lookback_stateET6_jjj
		.amdhsa_group_segment_fixed_size 26624
		.amdhsa_private_segment_fixed_size 0
		.amdhsa_kernarg_size 336
		.amdhsa_user_sgpr_count 6
		.amdhsa_user_sgpr_private_segment_buffer 1
		.amdhsa_user_sgpr_dispatch_ptr 0
		.amdhsa_user_sgpr_queue_ptr 0
		.amdhsa_user_sgpr_kernarg_segment_ptr 1
		.amdhsa_user_sgpr_dispatch_id 0
		.amdhsa_user_sgpr_flat_scratch_init 0
		.amdhsa_user_sgpr_private_segment_size 0
		.amdhsa_uses_dynamic_stack 0
		.amdhsa_system_sgpr_private_segment_wavefront_offset 0
		.amdhsa_system_sgpr_workgroup_id_x 1
		.amdhsa_system_sgpr_workgroup_id_y 0
		.amdhsa_system_sgpr_workgroup_id_z 0
		.amdhsa_system_sgpr_workgroup_info 0
		.amdhsa_system_vgpr_workitem_id 2
		.amdhsa_next_free_vgpr 49
		.amdhsa_next_free_sgpr 98
		.amdhsa_reserve_vcc 1
		.amdhsa_reserve_flat_scratch 0
		.amdhsa_float_round_mode_32 0
		.amdhsa_float_round_mode_16_64 0
		.amdhsa_float_denorm_mode_32 3
		.amdhsa_float_denorm_mode_16_64 3
		.amdhsa_dx10_clamp 1
		.amdhsa_ieee_mode 1
		.amdhsa_fp16_overflow 0
		.amdhsa_exception_fp_ieee_invalid_op 0
		.amdhsa_exception_fp_denorm_src 0
		.amdhsa_exception_fp_ieee_div_zero 0
		.amdhsa_exception_fp_ieee_overflow 0
		.amdhsa_exception_fp_ieee_underflow 0
		.amdhsa_exception_fp_ieee_inexact 0
		.amdhsa_exception_int_div_zero 0
	.end_amdhsa_kernel
	.section	.text._ZN7rocprim17ROCPRIM_304000_NS6detail25onesweep_iteration_kernelINS1_34wrapped_radix_sort_onesweep_configINS0_14default_configEmN2at4cuda3cub6detail10OpaqueTypeILi8EEEEELb1EPmSC_PSA_SD_mNS0_19identity_decomposerEEEvT1_T2_T3_T4_jPT5_SK_PNS1_23onesweep_lookback_stateET6_jjj,"axG",@progbits,_ZN7rocprim17ROCPRIM_304000_NS6detail25onesweep_iteration_kernelINS1_34wrapped_radix_sort_onesweep_configINS0_14default_configEmN2at4cuda3cub6detail10OpaqueTypeILi8EEEEELb1EPmSC_PSA_SD_mNS0_19identity_decomposerEEEvT1_T2_T3_T4_jPT5_SK_PNS1_23onesweep_lookback_stateET6_jjj,comdat
.Lfunc_end15:
	.size	_ZN7rocprim17ROCPRIM_304000_NS6detail25onesweep_iteration_kernelINS1_34wrapped_radix_sort_onesweep_configINS0_14default_configEmN2at4cuda3cub6detail10OpaqueTypeILi8EEEEELb1EPmSC_PSA_SD_mNS0_19identity_decomposerEEEvT1_T2_T3_T4_jPT5_SK_PNS1_23onesweep_lookback_stateET6_jjj, .Lfunc_end15-_ZN7rocprim17ROCPRIM_304000_NS6detail25onesweep_iteration_kernelINS1_34wrapped_radix_sort_onesweep_configINS0_14default_configEmN2at4cuda3cub6detail10OpaqueTypeILi8EEEEELb1EPmSC_PSA_SD_mNS0_19identity_decomposerEEEvT1_T2_T3_T4_jPT5_SK_PNS1_23onesweep_lookback_stateET6_jjj
                                        ; -- End function
	.set _ZN7rocprim17ROCPRIM_304000_NS6detail25onesweep_iteration_kernelINS1_34wrapped_radix_sort_onesweep_configINS0_14default_configEmN2at4cuda3cub6detail10OpaqueTypeILi8EEEEELb1EPmSC_PSA_SD_mNS0_19identity_decomposerEEEvT1_T2_T3_T4_jPT5_SK_PNS1_23onesweep_lookback_stateET6_jjj.num_vgpr, 47
	.set _ZN7rocprim17ROCPRIM_304000_NS6detail25onesweep_iteration_kernelINS1_34wrapped_radix_sort_onesweep_configINS0_14default_configEmN2at4cuda3cub6detail10OpaqueTypeILi8EEEEELb1EPmSC_PSA_SD_mNS0_19identity_decomposerEEEvT1_T2_T3_T4_jPT5_SK_PNS1_23onesweep_lookback_stateET6_jjj.num_agpr, 0
	.set _ZN7rocprim17ROCPRIM_304000_NS6detail25onesweep_iteration_kernelINS1_34wrapped_radix_sort_onesweep_configINS0_14default_configEmN2at4cuda3cub6detail10OpaqueTypeILi8EEEEELb1EPmSC_PSA_SD_mNS0_19identity_decomposerEEEvT1_T2_T3_T4_jPT5_SK_PNS1_23onesweep_lookback_stateET6_jjj.numbered_sgpr, 54
	.set _ZN7rocprim17ROCPRIM_304000_NS6detail25onesweep_iteration_kernelINS1_34wrapped_radix_sort_onesweep_configINS0_14default_configEmN2at4cuda3cub6detail10OpaqueTypeILi8EEEEELb1EPmSC_PSA_SD_mNS0_19identity_decomposerEEEvT1_T2_T3_T4_jPT5_SK_PNS1_23onesweep_lookback_stateET6_jjj.num_named_barrier, 0
	.set _ZN7rocprim17ROCPRIM_304000_NS6detail25onesweep_iteration_kernelINS1_34wrapped_radix_sort_onesweep_configINS0_14default_configEmN2at4cuda3cub6detail10OpaqueTypeILi8EEEEELb1EPmSC_PSA_SD_mNS0_19identity_decomposerEEEvT1_T2_T3_T4_jPT5_SK_PNS1_23onesweep_lookback_stateET6_jjj.private_seg_size, 0
	.set _ZN7rocprim17ROCPRIM_304000_NS6detail25onesweep_iteration_kernelINS1_34wrapped_radix_sort_onesweep_configINS0_14default_configEmN2at4cuda3cub6detail10OpaqueTypeILi8EEEEELb1EPmSC_PSA_SD_mNS0_19identity_decomposerEEEvT1_T2_T3_T4_jPT5_SK_PNS1_23onesweep_lookback_stateET6_jjj.uses_vcc, 1
	.set _ZN7rocprim17ROCPRIM_304000_NS6detail25onesweep_iteration_kernelINS1_34wrapped_radix_sort_onesweep_configINS0_14default_configEmN2at4cuda3cub6detail10OpaqueTypeILi8EEEEELb1EPmSC_PSA_SD_mNS0_19identity_decomposerEEEvT1_T2_T3_T4_jPT5_SK_PNS1_23onesweep_lookback_stateET6_jjj.uses_flat_scratch, 0
	.set _ZN7rocprim17ROCPRIM_304000_NS6detail25onesweep_iteration_kernelINS1_34wrapped_radix_sort_onesweep_configINS0_14default_configEmN2at4cuda3cub6detail10OpaqueTypeILi8EEEEELb1EPmSC_PSA_SD_mNS0_19identity_decomposerEEEvT1_T2_T3_T4_jPT5_SK_PNS1_23onesweep_lookback_stateET6_jjj.has_dyn_sized_stack, 0
	.set _ZN7rocprim17ROCPRIM_304000_NS6detail25onesweep_iteration_kernelINS1_34wrapped_radix_sort_onesweep_configINS0_14default_configEmN2at4cuda3cub6detail10OpaqueTypeILi8EEEEELb1EPmSC_PSA_SD_mNS0_19identity_decomposerEEEvT1_T2_T3_T4_jPT5_SK_PNS1_23onesweep_lookback_stateET6_jjj.has_recursion, 0
	.set _ZN7rocprim17ROCPRIM_304000_NS6detail25onesweep_iteration_kernelINS1_34wrapped_radix_sort_onesweep_configINS0_14default_configEmN2at4cuda3cub6detail10OpaqueTypeILi8EEEEELb1EPmSC_PSA_SD_mNS0_19identity_decomposerEEEvT1_T2_T3_T4_jPT5_SK_PNS1_23onesweep_lookback_stateET6_jjj.has_indirect_call, 0
	.section	.AMDGPU.csdata,"",@progbits
; Kernel info:
; codeLenInByte = 11208
; TotalNumSgprs: 58
; NumVgprs: 47
; ScratchSize: 0
; MemoryBound: 1
; FloatMode: 240
; IeeeMode: 1
; LDSByteSize: 26624 bytes/workgroup (compile time only)
; SGPRBlocks: 12
; VGPRBlocks: 12
; NumSGPRsForWavesPerEU: 102
; NumVGPRsForWavesPerEU: 49
; Occupancy: 4
; WaveLimiterHint : 1
; COMPUTE_PGM_RSRC2:SCRATCH_EN: 0
; COMPUTE_PGM_RSRC2:USER_SGPR: 6
; COMPUTE_PGM_RSRC2:TRAP_HANDLER: 0
; COMPUTE_PGM_RSRC2:TGID_X_EN: 1
; COMPUTE_PGM_RSRC2:TGID_Y_EN: 0
; COMPUTE_PGM_RSRC2:TGID_Z_EN: 0
; COMPUTE_PGM_RSRC2:TIDIG_COMP_CNT: 2
	.section	.text._ZN7rocprim17ROCPRIM_304000_NS6detail28radix_sort_block_sort_kernelINS1_36wrapped_radix_sort_block_sort_configINS0_13kernel_configILj256ELj4ELj4294967295EEEmN2at4cuda3cub6detail10OpaqueTypeILi8EEEEELb0EPKmPmPKSB_PSB_NS0_19identity_decomposerEEEvT1_T2_T3_T4_jT5_jj,"axG",@progbits,_ZN7rocprim17ROCPRIM_304000_NS6detail28radix_sort_block_sort_kernelINS1_36wrapped_radix_sort_block_sort_configINS0_13kernel_configILj256ELj4ELj4294967295EEEmN2at4cuda3cub6detail10OpaqueTypeILi8EEEEELb0EPKmPmPKSB_PSB_NS0_19identity_decomposerEEEvT1_T2_T3_T4_jT5_jj,comdat
	.protected	_ZN7rocprim17ROCPRIM_304000_NS6detail28radix_sort_block_sort_kernelINS1_36wrapped_radix_sort_block_sort_configINS0_13kernel_configILj256ELj4ELj4294967295EEEmN2at4cuda3cub6detail10OpaqueTypeILi8EEEEELb0EPKmPmPKSB_PSB_NS0_19identity_decomposerEEEvT1_T2_T3_T4_jT5_jj ; -- Begin function _ZN7rocprim17ROCPRIM_304000_NS6detail28radix_sort_block_sort_kernelINS1_36wrapped_radix_sort_block_sort_configINS0_13kernel_configILj256ELj4ELj4294967295EEEmN2at4cuda3cub6detail10OpaqueTypeILi8EEEEELb0EPKmPmPKSB_PSB_NS0_19identity_decomposerEEEvT1_T2_T3_T4_jT5_jj
	.globl	_ZN7rocprim17ROCPRIM_304000_NS6detail28radix_sort_block_sort_kernelINS1_36wrapped_radix_sort_block_sort_configINS0_13kernel_configILj256ELj4ELj4294967295EEEmN2at4cuda3cub6detail10OpaqueTypeILi8EEEEELb0EPKmPmPKSB_PSB_NS0_19identity_decomposerEEEvT1_T2_T3_T4_jT5_jj
	.p2align	8
	.type	_ZN7rocprim17ROCPRIM_304000_NS6detail28radix_sort_block_sort_kernelINS1_36wrapped_radix_sort_block_sort_configINS0_13kernel_configILj256ELj4ELj4294967295EEEmN2at4cuda3cub6detail10OpaqueTypeILi8EEEEELb0EPKmPmPKSB_PSB_NS0_19identity_decomposerEEEvT1_T2_T3_T4_jT5_jj,@function
_ZN7rocprim17ROCPRIM_304000_NS6detail28radix_sort_block_sort_kernelINS1_36wrapped_radix_sort_block_sort_configINS0_13kernel_configILj256ELj4ELj4294967295EEEmN2at4cuda3cub6detail10OpaqueTypeILi8EEEEELb0EPKmPmPKSB_PSB_NS0_19identity_decomposerEEEvT1_T2_T3_T4_jT5_jj: ; @_ZN7rocprim17ROCPRIM_304000_NS6detail28radix_sort_block_sort_kernelINS1_36wrapped_radix_sort_block_sort_configINS0_13kernel_configILj256ELj4ELj4294967295EEEmN2at4cuda3cub6detail10OpaqueTypeILi8EEEEELb0EPKmPmPKSB_PSB_NS0_19identity_decomposerEEEvT1_T2_T3_T4_jT5_jj
; %bb.0:
	s_load_dword s7, s[4:5], 0x20
	s_load_dwordx8 s[36:43], s[4:5], 0x0
	s_lshl_b32 s0, s6, 10
	s_mov_b32 s1, 0
	v_mbcnt_lo_u32_b32 v3, -1, 0
	s_waitcnt lgkmcnt(0)
	s_lshr_b32 s2, s7, 10
	s_cmp_lg_u32 s6, s2
	s_cselect_b64 s[30:31], -1, 0
	s_lshl_b64 s[28:29], s[0:1], 3
	s_add_u32 s1, s36, s28
	v_mbcnt_hi_u32_b32 v19, -1, v3
	s_addc_u32 s3, s37, s29
	v_lshlrev_b32_e32 v21, 2, v0
	v_lshlrev_b32_e32 v22, 3, v19
	v_and_b32_e32 v23, 0x300, v21
	v_mov_b32_e32 v3, s3
	v_add_co_u32_e32 v4, vcc, s1, v22
	v_addc_co_u32_e32 v3, vcc, 0, v3, vcc
	v_lshlrev_b32_e32 v20, 3, v23
	v_add_co_u32_e32 v17, vcc, v4, v20
	s_cmp_eq_u32 s6, s2
	v_addc_co_u32_e32 v18, vcc, 0, v3, vcc
	s_cbranch_scc1 .LBB16_2
; %bb.1:
	s_add_u32 s1, s40, s28
	s_addc_u32 s2, s41, s29
	v_mov_b32_e32 v11, s2
	v_add_co_u32_e32 v12, vcc, s1, v22
	v_addc_co_u32_e32 v11, vcc, 0, v11, vcc
	v_add_co_u32_e32 v24, vcc, v12, v20
	global_load_dwordx2 v[3:4], v[17:18], off
	global_load_dwordx2 v[5:6], v[17:18], off offset:512
	global_load_dwordx2 v[7:8], v[17:18], off offset:1024
	;; [unrolled: 1-line block ×3, first 2 shown]
	v_addc_co_u32_e32 v25, vcc, 0, v11, vcc
	global_load_dwordx2 v[11:12], v[24:25], off
	global_load_dwordx2 v[13:14], v[24:25], off offset:512
	global_load_dwordx2 v[15:16], v[24:25], off offset:1024
	s_mov_b64 s[8:9], -1
	s_sub_i32 s33, s7, s0
	s_cbranch_execz .LBB16_3
	s_branch .LBB16_16
.LBB16_2:
	s_mov_b64 s[8:9], 0
                                        ; implicit-def: $vgpr3_vgpr4_vgpr5_vgpr6_vgpr7_vgpr8_vgpr9_vgpr10
                                        ; implicit-def: $vgpr11_vgpr12
                                        ; implicit-def: $vgpr15_vgpr16
	s_sub_i32 s33, s7, s0
.LBB16_3:
	s_waitcnt vmcnt(2)
	v_add_u32_e32 v11, v19, v23
	v_mov_b32_e32 v3, -1
	v_cmp_gt_u32_e32 vcc, s33, v11
	v_mov_b32_e32 v4, v3
	v_mov_b32_e32 v5, v3
	;; [unrolled: 1-line block ×7, first 2 shown]
	s_and_saveexec_b64 s[0:1], vcc
	s_cbranch_execz .LBB16_5
; %bb.4:
	global_load_dwordx2 v[23:24], v[17:18], off
	v_mov_b32_e32 v25, v3
	v_mov_b32_e32 v26, v3
	v_mov_b32_e32 v27, v3
	v_mov_b32_e32 v28, v3
	v_mov_b32_e32 v29, v3
	v_mov_b32_e32 v30, v3
	s_waitcnt vmcnt(0)
	v_mov_b32_e32 v3, v23
	v_mov_b32_e32 v4, v24
	;; [unrolled: 1-line block ×8, first 2 shown]
.LBB16_5:
	s_or_b64 exec, exec, s[0:1]
	v_add_u32_e32 v12, 64, v11
	v_cmp_gt_u32_e64 s[0:1], s33, v12
	s_and_saveexec_b64 s[2:3], s[0:1]
	s_cbranch_execz .LBB16_7
; %bb.6:
	global_load_dwordx2 v[5:6], v[17:18], off offset:512
.LBB16_7:
	s_or_b64 exec, exec, s[2:3]
	v_add_u32_e32 v12, 0x80, v11
	v_cmp_gt_u32_e64 s[2:3], s33, v12
	s_and_saveexec_b64 s[6:7], s[2:3]
	s_cbranch_execz .LBB16_9
; %bb.8:
	global_load_dwordx2 v[7:8], v[17:18], off offset:1024
.LBB16_9:
	;; [unrolled: 8-line block ×3, first 2 shown]
	s_or_b64 exec, exec, s[6:7]
	s_add_u32 s6, s40, s28
	s_addc_u32 s7, s41, s29
	v_mov_b32_e32 v11, s7
	v_add_co_u32_e64 v12, s[6:7], s6, v22
	v_addc_co_u32_e64 v11, s[6:7], 0, v11, s[6:7]
	v_add_co_u32_e64 v17, s[6:7], v12, v20
	v_addc_co_u32_e64 v18, s[6:7], 0, v11, s[6:7]
                                        ; implicit-def: $vgpr11_vgpr12
	s_and_saveexec_b64 s[6:7], vcc
	s_cbranch_execnz .LBB16_55
; %bb.12:
	s_or_b64 exec, exec, s[6:7]
	s_and_saveexec_b64 s[6:7], s[0:1]
	s_cbranch_execnz .LBB16_56
.LBB16_13:
	s_or_b64 exec, exec, s[6:7]
                                        ; implicit-def: $vgpr15_vgpr16
	s_and_saveexec_b64 s[0:1], s[2:3]
	s_cbranch_execz .LBB16_15
.LBB16_14:
	global_load_dwordx2 v[15:16], v[17:18], off offset:1024
.LBB16_15:
	s_or_b64 exec, exec, s[0:1]
.LBB16_16:
	s_and_saveexec_b64 s[0:1], s[8:9]
	s_cbranch_execz .LBB16_18
; %bb.17:
	s_add_u32 s2, s40, s28
	s_addc_u32 s3, s41, s29
	v_mov_b32_e32 v17, s3
	v_add_co_u32_e32 v18, vcc, s2, v22
	v_addc_co_u32_e32 v22, vcc, 0, v17, vcc
	v_add_co_u32_e32 v17, vcc, v18, v20
	v_addc_co_u32_e32 v18, vcc, 0, v22, vcc
	global_load_dwordx2 v[17:18], v[17:18], off offset:1536
.LBB16_18:
	s_or_b64 exec, exec, s[0:1]
	s_load_dword s0, s[4:5], 0x3c
	s_load_dwordx2 s[34:35], s[4:5], 0x28
	s_mov_b32 s26, 0
	s_mov_b32 s27, s26
	;; [unrolled: 1-line block ×3, first 2 shown]
	s_waitcnt lgkmcnt(0)
	s_lshr_b32 s1, s0, 16
	s_and_b32 s0, s0, 0xffff
	v_mad_u32_u24 v1, v2, s1, v1
	v_mad_u64_u32 v[1:2], s[0:1], v1, s0, v[0:1]
	v_and_b32_e32 v2, 15, v19
	v_cmp_eq_u32_e64 s[0:1], 0, v2
	v_lshrrev_b32_e32 v1, 4, v1
	v_and_b32_e32 v42, 0xffffffc, v1
	v_and_b32_e32 v1, 16, v19
	v_cmp_eq_u32_e64 s[8:9], 0, v1
	v_or_b32_e32 v1, 63, v0
	v_cmp_lt_u32_e64 s[2:3], 1, v2
	v_cmp_lt_u32_e64 s[4:5], 3, v2
	;; [unrolled: 1-line block ×3, first 2 shown]
	v_cmp_eq_u32_e64 s[12:13], v0, v1
	v_subrev_co_u32_e64 v1, s[18:19], 1, v19
	v_and_b32_e32 v2, 64, v19
	v_cmp_lt_i32_e32 vcc, v1, v2
	v_cndmask_b32_e32 v1, v1, v19, vcc
	v_lshlrev_b32_e32 v43, 2, v1
	v_lshrrev_b32_e32 v1, 4, v0
	v_lshlrev_b32_e32 v41, 2, v21
	v_and_b32_e32 v44, 12, v1
	v_mul_i32_i24_e32 v1, -12, v0
	v_and_b32_e32 v2, 3, v19
	s_mov_b32 s41, s26
	v_mov_b32_e32 v28, s27
	v_mov_b32_e32 v29, s40
	s_add_i32 s36, s35, s34
	v_cmp_lt_u32_e64 s[10:11], 31, v19
	v_cmp_gt_u32_e64 s[14:15], 4, v0
	v_cmp_lt_u32_e64 s[16:17], 63, v0
	v_cmp_eq_u32_e64 s[20:21], 0, v0
	v_cmp_eq_u32_e64 s[22:23], 0, v2
	v_cmp_lt_u32_e64 s[24:25], 1, v2
	v_add_u32_e32 v45, -4, v44
	v_lshl_add_u32 v46, v19, 3, v20
	v_mov_b32_e32 v27, s26
	v_mov_b32_e32 v30, s41
	;; [unrolled: 1-line block ×3, first 2 shown]
	v_add_u32_e32 v47, v41, v1
	s_branch .LBB16_20
.LBB16_19:                              ;   in Loop: Header=BB16_20 Depth=1
	s_andn2_b64 vcc, exec, s[26:27]
	s_cbranch_vccz .LBB16_36
.LBB16_20:                              ; =>This Inner Loop Header: Depth=1
	s_min_u32 s26, s35, 8
	s_waitcnt vmcnt(6)
	v_mov_b32_e32 v33, v3
	v_mov_b32_e32 v34, v4
	s_lshl_b32 s26, -1, s26
	v_lshrrev_b64 v[1:2], s34, v[33:34]
	s_not_b32 s37, s26
	v_and_b32_e32 v3, s37, v1
	v_and_b32_e32 v1, 1, v3
	v_cmp_ne_u32_e32 vcc, 0, v1
	v_add_co_u32_e64 v1, s[26:27], -1, v1
	v_addc_co_u32_e64 v2, s[26:27], 0, -1, s[26:27]
	v_lshlrev_b32_e32 v32, 30, v3
	v_cmp_gt_i64_e64 s[26:27], 0, v[31:32]
	v_not_b32_e32 v4, v32
	s_waitcnt vmcnt(0)
	v_mov_b32_e32 v26, v12
	v_ashrrev_i32_e32 v4, 31, v4
	v_xor_b32_e32 v1, vcc_lo, v1
	v_mov_b32_e32 v25, v11
	v_xor_b32_e32 v11, s27, v4
	v_and_b32_e32 v1, exec_lo, v1
	v_xor_b32_e32 v4, s26, v4
	v_lshlrev_b32_e32 v32, 29, v3
	v_xor_b32_e32 v2, vcc_hi, v2
	v_and_b32_e32 v1, v1, v4
	v_cmp_gt_i64_e32 vcc, 0, v[31:32]
	v_not_b32_e32 v4, v32
	v_and_b32_e32 v2, exec_hi, v2
	v_ashrrev_i32_e32 v4, 31, v4
	v_and_b32_e32 v2, v2, v11
	v_xor_b32_e32 v11, vcc_hi, v4
	v_xor_b32_e32 v4, vcc_lo, v4
	v_lshlrev_b32_e32 v32, 28, v3
	v_and_b32_e32 v1, v1, v4
	v_cmp_gt_i64_e32 vcc, 0, v[31:32]
	v_not_b32_e32 v4, v32
	v_ashrrev_i32_e32 v4, 31, v4
	v_and_b32_e32 v2, v2, v11
	v_xor_b32_e32 v11, vcc_hi, v4
	v_xor_b32_e32 v4, vcc_lo, v4
	v_lshlrev_b32_e32 v32, 27, v3
	v_and_b32_e32 v1, v1, v4
	v_cmp_gt_i64_e32 vcc, 0, v[31:32]
	v_not_b32_e32 v4, v32
	;; [unrolled: 8-line block ×5, first 2 shown]
	v_ashrrev_i32_e32 v4, 31, v4
	v_and_b32_e32 v2, v2, v11
	v_xor_b32_e32 v11, vcc_hi, v4
	v_xor_b32_e32 v4, vcc_lo, v4
	v_and_b32_e32 v1, v1, v4
	v_and_b32_e32 v2, v2, v11
	v_mbcnt_lo_u32_b32 v4, v1, 0
	v_mbcnt_hi_u32_b32 v11, v2, v4
	v_cmp_ne_u64_e32 vcc, 0, v[1:2]
	v_mov_b32_e32 v24, v14
	v_mov_b32_e32 v22, v16
	;; [unrolled: 1-line block ×3, first 2 shown]
	v_lshlrev_b32_e32 v3, 4, v3
	v_cmp_eq_u32_e64 s[26:27], 0, v11
	v_mov_b32_e32 v23, v13
	v_mov_b32_e32 v21, v15
	;; [unrolled: 1-line block ×3, first 2 shown]
	s_and_b64 s[40:41], vcc, s[26:27]
	v_add_u32_e32 v12, v42, v3
	ds_write2_b64 v41, v[27:28], v[29:30] offset0:2 offset1:3
	s_waitcnt lgkmcnt(0)
	s_barrier
	; wave barrier
	s_and_saveexec_b64 s[26:27], s[40:41]
; %bb.21:                               ;   in Loop: Header=BB16_20 Depth=1
	v_bcnt_u32_b32 v1, v1, 0
	v_bcnt_u32_b32 v1, v2, v1
	ds_write_b32 v12, v1 offset:16
; %bb.22:                               ;   in Loop: Header=BB16_20 Depth=1
	s_or_b64 exec, exec, s[26:27]
	v_mov_b32_e32 v35, v5
	v_mov_b32_e32 v36, v6
	v_lshrrev_b64 v[1:2], s34, v[35:36]
	v_and_b32_e32 v1, s37, v1
	v_lshlrev_b32_e32 v2, 4, v1
	v_add_u32_e32 v6, v42, v2
	v_and_b32_e32 v2, 1, v1
	v_add_co_u32_e32 v3, vcc, -1, v2
	v_addc_co_u32_e64 v4, s[26:27], 0, -1, vcc
	v_cmp_ne_u32_e32 vcc, 0, v2
	v_lshlrev_b32_e32 v32, 30, v1
	v_xor_b32_e32 v2, vcc_hi, v4
	v_xor_b32_e32 v3, vcc_lo, v3
	v_cmp_gt_i64_e32 vcc, 0, v[31:32]
	v_not_b32_e32 v4, v32
	v_ashrrev_i32_e32 v4, 31, v4
	v_and_b32_e32 v3, exec_lo, v3
	v_xor_b32_e32 v13, vcc_hi, v4
	v_xor_b32_e32 v4, vcc_lo, v4
	v_lshlrev_b32_e32 v32, 29, v1
	v_and_b32_e32 v3, v3, v4
	v_cmp_gt_i64_e32 vcc, 0, v[31:32]
	v_not_b32_e32 v4, v32
	v_and_b32_e32 v2, exec_hi, v2
	v_ashrrev_i32_e32 v4, 31, v4
	v_and_b32_e32 v2, v2, v13
	v_xor_b32_e32 v13, vcc_hi, v4
	v_xor_b32_e32 v4, vcc_lo, v4
	v_lshlrev_b32_e32 v32, 28, v1
	v_and_b32_e32 v3, v3, v4
	v_cmp_gt_i64_e32 vcc, 0, v[31:32]
	v_not_b32_e32 v4, v32
	v_ashrrev_i32_e32 v4, 31, v4
	v_and_b32_e32 v2, v2, v13
	v_xor_b32_e32 v13, vcc_hi, v4
	v_xor_b32_e32 v4, vcc_lo, v4
	v_lshlrev_b32_e32 v32, 27, v1
	v_and_b32_e32 v3, v3, v4
	v_cmp_gt_i64_e32 vcc, 0, v[31:32]
	v_not_b32_e32 v4, v32
	;; [unrolled: 8-line block ×4, first 2 shown]
	v_ashrrev_i32_e32 v4, 31, v4
	v_lshlrev_b32_e32 v32, 24, v1
	v_and_b32_e32 v2, v2, v13
	v_xor_b32_e32 v13, vcc_hi, v4
	v_xor_b32_e32 v4, vcc_lo, v4
	v_cmp_gt_i64_e32 vcc, 0, v[31:32]
	v_not_b32_e32 v1, v32
	v_ashrrev_i32_e32 v1, 31, v1
	v_and_b32_e32 v3, v3, v4
	v_xor_b32_e32 v4, vcc_hi, v1
	v_xor_b32_e32 v1, vcc_lo, v1
	; wave barrier
	ds_read_b32 v5, v6 offset:16
	v_and_b32_e32 v2, v2, v13
	v_and_b32_e32 v1, v3, v1
	;; [unrolled: 1-line block ×3, first 2 shown]
	v_mbcnt_lo_u32_b32 v3, v1, 0
	v_mbcnt_hi_u32_b32 v13, v2, v3
	v_cmp_ne_u64_e32 vcc, 0, v[1:2]
	v_cmp_eq_u32_e64 s[26:27], 0, v13
	s_and_b64 s[40:41], vcc, s[26:27]
	; wave barrier
	s_and_saveexec_b64 s[26:27], s[40:41]
	s_cbranch_execz .LBB16_24
; %bb.23:                               ;   in Loop: Header=BB16_20 Depth=1
	v_bcnt_u32_b32 v1, v1, 0
	v_bcnt_u32_b32 v1, v2, v1
	s_waitcnt lgkmcnt(0)
	v_add_u32_e32 v1, v5, v1
	ds_write_b32 v6, v1 offset:16
.LBB16_24:                              ;   in Loop: Header=BB16_20 Depth=1
	s_or_b64 exec, exec, s[26:27]
	v_mov_b32_e32 v37, v7
	v_mov_b32_e32 v38, v8
	v_lshrrev_b64 v[1:2], s34, v[37:38]
	v_and_b32_e32 v1, s37, v1
	v_lshlrev_b32_e32 v2, 4, v1
	v_add_u32_e32 v8, v42, v2
	v_and_b32_e32 v2, 1, v1
	v_add_co_u32_e32 v3, vcc, -1, v2
	v_addc_co_u32_e64 v4, s[26:27], 0, -1, vcc
	v_cmp_ne_u32_e32 vcc, 0, v2
	v_lshlrev_b32_e32 v32, 30, v1
	v_xor_b32_e32 v2, vcc_hi, v4
	v_xor_b32_e32 v3, vcc_lo, v3
	v_cmp_gt_i64_e32 vcc, 0, v[31:32]
	v_not_b32_e32 v4, v32
	v_ashrrev_i32_e32 v4, 31, v4
	v_and_b32_e32 v3, exec_lo, v3
	v_xor_b32_e32 v14, vcc_hi, v4
	v_xor_b32_e32 v4, vcc_lo, v4
	v_lshlrev_b32_e32 v32, 29, v1
	v_and_b32_e32 v3, v3, v4
	v_cmp_gt_i64_e32 vcc, 0, v[31:32]
	v_not_b32_e32 v4, v32
	v_and_b32_e32 v2, exec_hi, v2
	v_ashrrev_i32_e32 v4, 31, v4
	v_and_b32_e32 v2, v2, v14
	v_xor_b32_e32 v14, vcc_hi, v4
	v_xor_b32_e32 v4, vcc_lo, v4
	v_lshlrev_b32_e32 v32, 28, v1
	v_and_b32_e32 v3, v3, v4
	v_cmp_gt_i64_e32 vcc, 0, v[31:32]
	v_not_b32_e32 v4, v32
	v_ashrrev_i32_e32 v4, 31, v4
	v_and_b32_e32 v2, v2, v14
	v_xor_b32_e32 v14, vcc_hi, v4
	v_xor_b32_e32 v4, vcc_lo, v4
	v_lshlrev_b32_e32 v32, 27, v1
	v_and_b32_e32 v3, v3, v4
	v_cmp_gt_i64_e32 vcc, 0, v[31:32]
	v_not_b32_e32 v4, v32
	v_ashrrev_i32_e32 v4, 31, v4
	v_and_b32_e32 v2, v2, v14
	v_xor_b32_e32 v14, vcc_hi, v4
	v_xor_b32_e32 v4, vcc_lo, v4
	v_lshlrev_b32_e32 v32, 26, v1
	v_and_b32_e32 v3, v3, v4
	v_cmp_gt_i64_e32 vcc, 0, v[31:32]
	v_not_b32_e32 v4, v32
	v_ashrrev_i32_e32 v4, 31, v4
	v_and_b32_e32 v2, v2, v14
	v_xor_b32_e32 v14, vcc_hi, v4
	v_xor_b32_e32 v4, vcc_lo, v4
	v_lshlrev_b32_e32 v32, 25, v1
	v_and_b32_e32 v3, v3, v4
	v_cmp_gt_i64_e32 vcc, 0, v[31:32]
	v_not_b32_e32 v4, v32
	v_ashrrev_i32_e32 v4, 31, v4
	v_lshlrev_b32_e32 v32, 24, v1
	v_and_b32_e32 v2, v2, v14
	v_xor_b32_e32 v14, vcc_hi, v4
	v_xor_b32_e32 v4, vcc_lo, v4
	v_cmp_gt_i64_e32 vcc, 0, v[31:32]
	v_not_b32_e32 v1, v32
	v_ashrrev_i32_e32 v1, 31, v1
	v_and_b32_e32 v3, v3, v4
	v_xor_b32_e32 v4, vcc_hi, v1
	v_xor_b32_e32 v1, vcc_lo, v1
	; wave barrier
	ds_read_b32 v7, v8 offset:16
	v_and_b32_e32 v2, v2, v14
	v_and_b32_e32 v1, v3, v1
	;; [unrolled: 1-line block ×3, first 2 shown]
	v_mbcnt_lo_u32_b32 v3, v1, 0
	v_mbcnt_hi_u32_b32 v14, v2, v3
	v_cmp_ne_u64_e32 vcc, 0, v[1:2]
	v_cmp_eq_u32_e64 s[26:27], 0, v14
	s_and_b64 s[40:41], vcc, s[26:27]
	; wave barrier
	s_and_saveexec_b64 s[26:27], s[40:41]
	s_cbranch_execz .LBB16_26
; %bb.25:                               ;   in Loop: Header=BB16_20 Depth=1
	v_bcnt_u32_b32 v1, v1, 0
	v_bcnt_u32_b32 v1, v2, v1
	s_waitcnt lgkmcnt(0)
	v_add_u32_e32 v1, v7, v1
	ds_write_b32 v8, v1 offset:16
.LBB16_26:                              ;   in Loop: Header=BB16_20 Depth=1
	s_or_b64 exec, exec, s[26:27]
	v_mov_b32_e32 v39, v9
	v_mov_b32_e32 v40, v10
	v_lshrrev_b64 v[1:2], s34, v[39:40]
	v_and_b32_e32 v1, s37, v1
	v_lshlrev_b32_e32 v2, 4, v1
	v_add_u32_e32 v10, v42, v2
	v_and_b32_e32 v2, 1, v1
	v_add_co_u32_e32 v3, vcc, -1, v2
	v_addc_co_u32_e64 v4, s[26:27], 0, -1, vcc
	v_cmp_ne_u32_e32 vcc, 0, v2
	v_lshlrev_b32_e32 v32, 30, v1
	v_xor_b32_e32 v2, vcc_hi, v4
	v_xor_b32_e32 v3, vcc_lo, v3
	v_cmp_gt_i64_e32 vcc, 0, v[31:32]
	v_not_b32_e32 v4, v32
	v_ashrrev_i32_e32 v4, 31, v4
	v_and_b32_e32 v3, exec_lo, v3
	v_xor_b32_e32 v15, vcc_hi, v4
	v_xor_b32_e32 v4, vcc_lo, v4
	v_lshlrev_b32_e32 v32, 29, v1
	v_and_b32_e32 v3, v3, v4
	v_cmp_gt_i64_e32 vcc, 0, v[31:32]
	v_not_b32_e32 v4, v32
	v_and_b32_e32 v2, exec_hi, v2
	v_ashrrev_i32_e32 v4, 31, v4
	v_and_b32_e32 v2, v2, v15
	v_xor_b32_e32 v15, vcc_hi, v4
	v_xor_b32_e32 v4, vcc_lo, v4
	v_lshlrev_b32_e32 v32, 28, v1
	v_and_b32_e32 v3, v3, v4
	v_cmp_gt_i64_e32 vcc, 0, v[31:32]
	v_not_b32_e32 v4, v32
	v_ashrrev_i32_e32 v4, 31, v4
	v_and_b32_e32 v2, v2, v15
	v_xor_b32_e32 v15, vcc_hi, v4
	v_xor_b32_e32 v4, vcc_lo, v4
	v_lshlrev_b32_e32 v32, 27, v1
	v_and_b32_e32 v3, v3, v4
	v_cmp_gt_i64_e32 vcc, 0, v[31:32]
	v_not_b32_e32 v4, v32
	;; [unrolled: 8-line block ×4, first 2 shown]
	v_ashrrev_i32_e32 v4, 31, v4
	v_lshlrev_b32_e32 v32, 24, v1
	v_and_b32_e32 v2, v2, v15
	v_xor_b32_e32 v15, vcc_hi, v4
	v_xor_b32_e32 v4, vcc_lo, v4
	v_cmp_gt_i64_e32 vcc, 0, v[31:32]
	v_not_b32_e32 v1, v32
	v_ashrrev_i32_e32 v1, 31, v1
	v_and_b32_e32 v3, v3, v4
	v_xor_b32_e32 v4, vcc_hi, v1
	v_xor_b32_e32 v1, vcc_lo, v1
	; wave barrier
	ds_read_b32 v9, v10 offset:16
	v_and_b32_e32 v2, v2, v15
	v_and_b32_e32 v1, v3, v1
	;; [unrolled: 1-line block ×3, first 2 shown]
	v_mbcnt_lo_u32_b32 v3, v1, 0
	v_mbcnt_hi_u32_b32 v15, v2, v3
	v_cmp_ne_u64_e32 vcc, 0, v[1:2]
	v_cmp_eq_u32_e64 s[26:27], 0, v15
	s_and_b64 s[40:41], vcc, s[26:27]
	; wave barrier
	s_and_saveexec_b64 s[26:27], s[40:41]
	s_cbranch_execz .LBB16_28
; %bb.27:                               ;   in Loop: Header=BB16_20 Depth=1
	v_bcnt_u32_b32 v1, v1, 0
	v_bcnt_u32_b32 v1, v2, v1
	s_waitcnt lgkmcnt(0)
	v_add_u32_e32 v1, v9, v1
	ds_write_b32 v10, v1 offset:16
.LBB16_28:                              ;   in Loop: Header=BB16_20 Depth=1
	s_or_b64 exec, exec, s[26:27]
	; wave barrier
	s_waitcnt lgkmcnt(0)
	s_barrier
	ds_read2_b64 v[1:4], v41 offset0:2 offset1:3
	s_waitcnt lgkmcnt(0)
	v_add_u32_e32 v16, v2, v1
	v_add3_u32 v4, v16, v3, v4
	s_nop 1
	v_mov_b32_dpp v16, v4 row_shr:1 row_mask:0xf bank_mask:0xf
	v_cndmask_b32_e64 v16, v16, 0, s[0:1]
	v_add_u32_e32 v4, v16, v4
	s_nop 1
	v_mov_b32_dpp v16, v4 row_shr:2 row_mask:0xf bank_mask:0xf
	v_cndmask_b32_e64 v16, 0, v16, s[2:3]
	v_add_u32_e32 v4, v4, v16
	;; [unrolled: 4-line block ×4, first 2 shown]
	s_nop 1
	v_mov_b32_dpp v16, v4 row_bcast:15 row_mask:0xf bank_mask:0xf
	v_cndmask_b32_e64 v16, v16, 0, s[8:9]
	v_add_u32_e32 v4, v4, v16
	s_nop 1
	v_mov_b32_dpp v16, v4 row_bcast:31 row_mask:0xf bank_mask:0xf
	v_cndmask_b32_e64 v16, 0, v16, s[10:11]
	v_add_u32_e32 v4, v4, v16
	s_and_saveexec_b64 s[26:27], s[12:13]
; %bb.29:                               ;   in Loop: Header=BB16_20 Depth=1
	ds_write_b32 v44, v4
; %bb.30:                               ;   in Loop: Header=BB16_20 Depth=1
	s_or_b64 exec, exec, s[26:27]
	s_waitcnt lgkmcnt(0)
	s_barrier
	s_and_saveexec_b64 s[26:27], s[14:15]
	s_cbranch_execz .LBB16_32
; %bb.31:                               ;   in Loop: Header=BB16_20 Depth=1
	ds_read_b32 v16, v47
	s_waitcnt lgkmcnt(0)
	s_nop 0
	v_mov_b32_dpp v17, v16 row_shr:1 row_mask:0xf bank_mask:0xf
	v_cndmask_b32_e64 v17, v17, 0, s[22:23]
	v_add_u32_e32 v16, v17, v16
	s_nop 1
	v_mov_b32_dpp v17, v16 row_shr:2 row_mask:0xf bank_mask:0xf
	v_cndmask_b32_e64 v17, 0, v17, s[24:25]
	v_add_u32_e32 v16, v16, v17
	ds_write_b32 v47, v16
.LBB16_32:                              ;   in Loop: Header=BB16_20 Depth=1
	s_or_b64 exec, exec, s[26:27]
	v_mov_b32_e32 v16, 0
	s_waitcnt lgkmcnt(0)
	s_barrier
	s_and_saveexec_b64 s[26:27], s[16:17]
; %bb.33:                               ;   in Loop: Header=BB16_20 Depth=1
	ds_read_b32 v16, v45
; %bb.34:                               ;   in Loop: Header=BB16_20 Depth=1
	s_or_b64 exec, exec, s[26:27]
	s_waitcnt lgkmcnt(0)
	v_add_u32_e32 v4, v16, v4
	ds_bpermute_b32 v4, v43, v4
	v_lshlrev_b32_e32 v5, 3, v5
	s_add_i32 s34, s34, 8
	s_cmp_ge_u32 s34, s36
	s_mov_b64 s[26:27], -1
	s_waitcnt lgkmcnt(0)
	v_cndmask_b32_e64 v4, v4, v16, s[18:19]
	v_cndmask_b32_e64 v16, v4, 0, s[20:21]
	v_add_u32_e32 v17, v16, v1
	v_add_u32_e32 v1, v17, v2
	;; [unrolled: 1-line block ×3, first 2 shown]
	ds_write2_b64 v41, v[16:17], v[1:2] offset0:2 offset1:3
	s_waitcnt lgkmcnt(0)
	s_barrier
	ds_read_b32 v1, v12 offset:16
	ds_read_b32 v2, v6 offset:16
	;; [unrolled: 1-line block ×4, first 2 shown]
	v_lshlrev_b32_e32 v6, 3, v11
	s_waitcnt lgkmcnt(3)
	v_lshl_add_u32 v1, v1, 3, v6
	v_lshlrev_b32_e32 v6, 3, v13
	s_waitcnt lgkmcnt(2)
	v_lshlrev_b32_e32 v2, 3, v2
	v_add3_u32 v2, v6, v5, v2
	v_lshlrev_b32_e32 v5, 3, v14
	v_lshlrev_b32_e32 v6, 3, v7
	s_waitcnt lgkmcnt(1)
	v_lshlrev_b32_e32 v3, 3, v3
	v_add3_u32 v32, v5, v6, v3
	v_lshlrev_b32_e32 v3, 3, v15
	v_lshlrev_b32_e32 v5, 3, v9
	s_waitcnt lgkmcnt(0)
	v_lshlrev_b32_e32 v4, 3, v4
	v_add3_u32 v48, v3, v5, v4
                                        ; implicit-def: $vgpr3_vgpr4_vgpr5_vgpr6_vgpr7_vgpr8_vgpr9_vgpr10
                                        ; implicit-def: $vgpr11_vgpr12
                                        ; implicit-def: $vgpr15_vgpr16
	s_cbranch_scc1 .LBB16_19
; %bb.35:                               ;   in Loop: Header=BB16_20 Depth=1
	s_barrier
	ds_write_b64 v1, v[33:34]
	ds_write_b64 v2, v[35:36]
	;; [unrolled: 1-line block ×4, first 2 shown]
	s_waitcnt lgkmcnt(0)
	s_barrier
	ds_read2st64_b64 v[3:6], v46 offset1:1
	ds_read2st64_b64 v[7:10], v46 offset0:2 offset1:3
	s_waitcnt lgkmcnt(0)
	s_barrier
	ds_write_b64 v1, v[25:26]
	ds_write_b64 v2, v[23:24]
	ds_write_b64 v32, v[21:22]
	ds_write_b64 v48, v[19:20]
	s_waitcnt lgkmcnt(0)
	s_barrier
	ds_read2st64_b64 v[11:14], v46 offset1:1
	ds_read2st64_b64 v[15:18], v46 offset0:2 offset1:3
	s_add_i32 s35, s35, -8
	s_mov_b64 s[26:27], 0
	s_waitcnt lgkmcnt(0)
	s_barrier
	s_branch .LBB16_19
.LBB16_36:
	v_lshlrev_b32_e32 v27, 3, v0
	s_barrier
	ds_write_b64 v1, v[33:34]
	ds_write_b64 v2, v[35:36]
	;; [unrolled: 1-line block ×4, first 2 shown]
	s_waitcnt lgkmcnt(0)
	s_barrier
	ds_read2st64_b64 v[13:16], v27 offset1:4
	ds_read2st64_b64 v[9:12], v27 offset0:8 offset1:12
	s_waitcnt lgkmcnt(0)
	s_barrier
	ds_write_b64 v1, v[25:26]
	ds_write_b64 v2, v[23:24]
	;; [unrolled: 1-line block ×4, first 2 shown]
	s_waitcnt lgkmcnt(0)
	s_barrier
	ds_read2st64_b64 v[5:8], v27 offset1:4
	ds_read2st64_b64 v[1:4], v27 offset0:8 offset1:12
	s_add_u32 s0, s38, s28
	s_addc_u32 s1, s39, s29
	v_mov_b32_e32 v18, s1
	v_add_co_u32_e64 v17, s[0:1], s0, v27
	s_andn2_b64 vcc, exec, s[30:31]
	v_addc_co_u32_e64 v18, s[0:1], 0, v18, s[0:1]
	s_cbranch_vccnz .LBB16_38
; %bb.37:
	v_add_co_u32_e32 v19, vcc, 0x1000, v17
	s_add_u32 s0, s42, s28
	v_addc_co_u32_e32 v20, vcc, 0, v18, vcc
	s_addc_u32 s1, s43, s29
	global_store_dwordx2 v[17:18], v[13:14], off
	global_store_dwordx2 v[17:18], v[15:16], off offset:2048
	global_store_dwordx2 v[19:20], v[9:10], off
	global_store_dwordx2 v[19:20], v[11:12], off offset:2048
	v_mov_b32_e32 v19, s1
	v_add_co_u32_e32 v20, vcc, s0, v27
	v_addc_co_u32_e32 v21, vcc, 0, v19, vcc
	v_add_co_u32_e32 v19, vcc, 0x1000, v20
	s_waitcnt lgkmcnt(1)
	global_store_dwordx2 v27, v[5:6], s[0:1]
	global_store_dwordx2 v27, v[7:8], s[0:1] offset:2048
	v_addc_co_u32_e32 v20, vcc, 0, v21, vcc
	s_mov_b64 s[6:7], -1
	s_waitcnt lgkmcnt(0)
	global_store_dwordx2 v[19:20], v[1:2], off
	s_cbranch_execz .LBB16_39
	s_branch .LBB16_52
.LBB16_38:
	s_mov_b64 s[6:7], 0
.LBB16_39:
	v_cmp_gt_u32_e64 s[0:1], s33, v0
	s_and_saveexec_b64 s[2:3], s[0:1]
	s_cbranch_execz .LBB16_41
; %bb.40:
	global_store_dwordx2 v[17:18], v[13:14], off
.LBB16_41:
	s_or_b64 exec, exec, s[2:3]
	v_or_b32_e32 v13, 0x100, v0
	v_cmp_gt_u32_e64 s[2:3], s33, v13
	s_and_saveexec_b64 s[4:5], s[2:3]
	s_cbranch_execz .LBB16_43
; %bb.42:
	global_store_dwordx2 v[17:18], v[15:16], off offset:2048
.LBB16_43:
	s_or_b64 exec, exec, s[4:5]
	v_or_b32_e32 v13, 0x200, v0
	v_cmp_gt_u32_e64 s[4:5], s33, v13
	s_and_saveexec_b64 s[6:7], s[4:5]
	s_cbranch_execz .LBB16_45
; %bb.44:
	v_add_co_u32_e32 v13, vcc, 0x1000, v17
	v_addc_co_u32_e32 v14, vcc, 0, v18, vcc
	global_store_dwordx2 v[13:14], v[9:10], off
.LBB16_45:
	s_or_b64 exec, exec, s[6:7]
	v_or_b32_e32 v0, 0x300, v0
	v_cmp_gt_u32_e64 s[6:7], s33, v0
	s_and_saveexec_b64 s[8:9], s[6:7]
	s_cbranch_execz .LBB16_47
; %bb.46:
	v_add_co_u32_e32 v9, vcc, 0x1000, v17
	v_addc_co_u32_e32 v10, vcc, 0, v18, vcc
	global_store_dwordx2 v[9:10], v[11:12], off offset:2048
.LBB16_47:
	s_or_b64 exec, exec, s[8:9]
	s_add_u32 s8, s42, s28
	s_addc_u32 s9, s43, s29
	v_mov_b32_e32 v0, s9
	v_add_co_u32_e32 v9, vcc, s8, v27
	v_addc_co_u32_e32 v10, vcc, 0, v0, vcc
	s_and_saveexec_b64 s[8:9], s[0:1]
	s_cbranch_execnz .LBB16_57
; %bb.48:
	s_or_b64 exec, exec, s[8:9]
	s_and_saveexec_b64 s[0:1], s[2:3]
	s_cbranch_execnz .LBB16_58
.LBB16_49:
	s_or_b64 exec, exec, s[0:1]
	s_and_saveexec_b64 s[0:1], s[4:5]
	s_cbranch_execz .LBB16_51
.LBB16_50:
	s_waitcnt lgkmcnt(1)
	v_add_co_u32_e32 v5, vcc, 0x1000, v9
	v_addc_co_u32_e32 v6, vcc, 0, v10, vcc
	s_waitcnt lgkmcnt(0)
	global_store_dwordx2 v[5:6], v[1:2], off
.LBB16_51:
	s_or_b64 exec, exec, s[0:1]
.LBB16_52:
	s_and_saveexec_b64 s[0:1], s[6:7]
	s_cbranch_execnz .LBB16_54
; %bb.53:
	s_endpgm
.LBB16_54:
	s_add_u32 s0, s42, s28
	s_addc_u32 s1, s43, s29
	v_mov_b32_e32 v0, s1
	s_waitcnt lgkmcnt(0)
	v_add_co_u32_e32 v1, vcc, s0, v27
	v_addc_co_u32_e32 v2, vcc, 0, v0, vcc
	v_add_co_u32_e32 v0, vcc, 0x1000, v1
	v_addc_co_u32_e32 v1, vcc, 0, v2, vcc
	global_store_dwordx2 v[0:1], v[3:4], off offset:2048
	s_endpgm
.LBB16_55:
	global_load_dwordx2 v[11:12], v[17:18], off
	s_or_b64 exec, exec, s[6:7]
	s_and_saveexec_b64 s[6:7], s[0:1]
	s_cbranch_execz .LBB16_13
.LBB16_56:
	global_load_dwordx2 v[13:14], v[17:18], off offset:512
	s_or_b64 exec, exec, s[6:7]
                                        ; implicit-def: $vgpr15_vgpr16
	s_and_saveexec_b64 s[0:1], s[2:3]
	s_cbranch_execnz .LBB16_14
	s_branch .LBB16_15
.LBB16_57:
	s_waitcnt lgkmcnt(1)
	global_store_dwordx2 v[9:10], v[5:6], off
	s_or_b64 exec, exec, s[8:9]
	s_and_saveexec_b64 s[0:1], s[2:3]
	s_cbranch_execz .LBB16_49
.LBB16_58:
	s_waitcnt lgkmcnt(1)
	global_store_dwordx2 v[9:10], v[7:8], off offset:2048
	s_or_b64 exec, exec, s[0:1]
	s_and_saveexec_b64 s[0:1], s[4:5]
	s_cbranch_execnz .LBB16_50
	s_branch .LBB16_51
	.section	.rodata,"a",@progbits
	.p2align	6, 0x0
	.amdhsa_kernel _ZN7rocprim17ROCPRIM_304000_NS6detail28radix_sort_block_sort_kernelINS1_36wrapped_radix_sort_block_sort_configINS0_13kernel_configILj256ELj4ELj4294967295EEEmN2at4cuda3cub6detail10OpaqueTypeILi8EEEEELb0EPKmPmPKSB_PSB_NS0_19identity_decomposerEEEvT1_T2_T3_T4_jT5_jj
		.amdhsa_group_segment_fixed_size 8192
		.amdhsa_private_segment_fixed_size 0
		.amdhsa_kernarg_size 304
		.amdhsa_user_sgpr_count 6
		.amdhsa_user_sgpr_private_segment_buffer 1
		.amdhsa_user_sgpr_dispatch_ptr 0
		.amdhsa_user_sgpr_queue_ptr 0
		.amdhsa_user_sgpr_kernarg_segment_ptr 1
		.amdhsa_user_sgpr_dispatch_id 0
		.amdhsa_user_sgpr_flat_scratch_init 0
		.amdhsa_user_sgpr_private_segment_size 0
		.amdhsa_uses_dynamic_stack 0
		.amdhsa_system_sgpr_private_segment_wavefront_offset 0
		.amdhsa_system_sgpr_workgroup_id_x 1
		.amdhsa_system_sgpr_workgroup_id_y 0
		.amdhsa_system_sgpr_workgroup_id_z 0
		.amdhsa_system_sgpr_workgroup_info 0
		.amdhsa_system_vgpr_workitem_id 2
		.amdhsa_next_free_vgpr 49
		.amdhsa_next_free_sgpr 61
		.amdhsa_reserve_vcc 1
		.amdhsa_reserve_flat_scratch 0
		.amdhsa_float_round_mode_32 0
		.amdhsa_float_round_mode_16_64 0
		.amdhsa_float_denorm_mode_32 3
		.amdhsa_float_denorm_mode_16_64 3
		.amdhsa_dx10_clamp 1
		.amdhsa_ieee_mode 1
		.amdhsa_fp16_overflow 0
		.amdhsa_exception_fp_ieee_invalid_op 0
		.amdhsa_exception_fp_denorm_src 0
		.amdhsa_exception_fp_ieee_div_zero 0
		.amdhsa_exception_fp_ieee_overflow 0
		.amdhsa_exception_fp_ieee_underflow 0
		.amdhsa_exception_fp_ieee_inexact 0
		.amdhsa_exception_int_div_zero 0
	.end_amdhsa_kernel
	.section	.text._ZN7rocprim17ROCPRIM_304000_NS6detail28radix_sort_block_sort_kernelINS1_36wrapped_radix_sort_block_sort_configINS0_13kernel_configILj256ELj4ELj4294967295EEEmN2at4cuda3cub6detail10OpaqueTypeILi8EEEEELb0EPKmPmPKSB_PSB_NS0_19identity_decomposerEEEvT1_T2_T3_T4_jT5_jj,"axG",@progbits,_ZN7rocprim17ROCPRIM_304000_NS6detail28radix_sort_block_sort_kernelINS1_36wrapped_radix_sort_block_sort_configINS0_13kernel_configILj256ELj4ELj4294967295EEEmN2at4cuda3cub6detail10OpaqueTypeILi8EEEEELb0EPKmPmPKSB_PSB_NS0_19identity_decomposerEEEvT1_T2_T3_T4_jT5_jj,comdat
.Lfunc_end16:
	.size	_ZN7rocprim17ROCPRIM_304000_NS6detail28radix_sort_block_sort_kernelINS1_36wrapped_radix_sort_block_sort_configINS0_13kernel_configILj256ELj4ELj4294967295EEEmN2at4cuda3cub6detail10OpaqueTypeILi8EEEEELb0EPKmPmPKSB_PSB_NS0_19identity_decomposerEEEvT1_T2_T3_T4_jT5_jj, .Lfunc_end16-_ZN7rocprim17ROCPRIM_304000_NS6detail28radix_sort_block_sort_kernelINS1_36wrapped_radix_sort_block_sort_configINS0_13kernel_configILj256ELj4ELj4294967295EEEmN2at4cuda3cub6detail10OpaqueTypeILi8EEEEELb0EPKmPmPKSB_PSB_NS0_19identity_decomposerEEEvT1_T2_T3_T4_jT5_jj
                                        ; -- End function
	.set _ZN7rocprim17ROCPRIM_304000_NS6detail28radix_sort_block_sort_kernelINS1_36wrapped_radix_sort_block_sort_configINS0_13kernel_configILj256ELj4ELj4294967295EEEmN2at4cuda3cub6detail10OpaqueTypeILi8EEEEELb0EPKmPmPKSB_PSB_NS0_19identity_decomposerEEEvT1_T2_T3_T4_jT5_jj.num_vgpr, 49
	.set _ZN7rocprim17ROCPRIM_304000_NS6detail28radix_sort_block_sort_kernelINS1_36wrapped_radix_sort_block_sort_configINS0_13kernel_configILj256ELj4ELj4294967295EEEmN2at4cuda3cub6detail10OpaqueTypeILi8EEEEELb0EPKmPmPKSB_PSB_NS0_19identity_decomposerEEEvT1_T2_T3_T4_jT5_jj.num_agpr, 0
	.set _ZN7rocprim17ROCPRIM_304000_NS6detail28radix_sort_block_sort_kernelINS1_36wrapped_radix_sort_block_sort_configINS0_13kernel_configILj256ELj4ELj4294967295EEEmN2at4cuda3cub6detail10OpaqueTypeILi8EEEEELb0EPKmPmPKSB_PSB_NS0_19identity_decomposerEEEvT1_T2_T3_T4_jT5_jj.numbered_sgpr, 44
	.set _ZN7rocprim17ROCPRIM_304000_NS6detail28radix_sort_block_sort_kernelINS1_36wrapped_radix_sort_block_sort_configINS0_13kernel_configILj256ELj4ELj4294967295EEEmN2at4cuda3cub6detail10OpaqueTypeILi8EEEEELb0EPKmPmPKSB_PSB_NS0_19identity_decomposerEEEvT1_T2_T3_T4_jT5_jj.num_named_barrier, 0
	.set _ZN7rocprim17ROCPRIM_304000_NS6detail28radix_sort_block_sort_kernelINS1_36wrapped_radix_sort_block_sort_configINS0_13kernel_configILj256ELj4ELj4294967295EEEmN2at4cuda3cub6detail10OpaqueTypeILi8EEEEELb0EPKmPmPKSB_PSB_NS0_19identity_decomposerEEEvT1_T2_T3_T4_jT5_jj.private_seg_size, 0
	.set _ZN7rocprim17ROCPRIM_304000_NS6detail28radix_sort_block_sort_kernelINS1_36wrapped_radix_sort_block_sort_configINS0_13kernel_configILj256ELj4ELj4294967295EEEmN2at4cuda3cub6detail10OpaqueTypeILi8EEEEELb0EPKmPmPKSB_PSB_NS0_19identity_decomposerEEEvT1_T2_T3_T4_jT5_jj.uses_vcc, 1
	.set _ZN7rocprim17ROCPRIM_304000_NS6detail28radix_sort_block_sort_kernelINS1_36wrapped_radix_sort_block_sort_configINS0_13kernel_configILj256ELj4ELj4294967295EEEmN2at4cuda3cub6detail10OpaqueTypeILi8EEEEELb0EPKmPmPKSB_PSB_NS0_19identity_decomposerEEEvT1_T2_T3_T4_jT5_jj.uses_flat_scratch, 0
	.set _ZN7rocprim17ROCPRIM_304000_NS6detail28radix_sort_block_sort_kernelINS1_36wrapped_radix_sort_block_sort_configINS0_13kernel_configILj256ELj4ELj4294967295EEEmN2at4cuda3cub6detail10OpaqueTypeILi8EEEEELb0EPKmPmPKSB_PSB_NS0_19identity_decomposerEEEvT1_T2_T3_T4_jT5_jj.has_dyn_sized_stack, 0
	.set _ZN7rocprim17ROCPRIM_304000_NS6detail28radix_sort_block_sort_kernelINS1_36wrapped_radix_sort_block_sort_configINS0_13kernel_configILj256ELj4ELj4294967295EEEmN2at4cuda3cub6detail10OpaqueTypeILi8EEEEELb0EPKmPmPKSB_PSB_NS0_19identity_decomposerEEEvT1_T2_T3_T4_jT5_jj.has_recursion, 0
	.set _ZN7rocprim17ROCPRIM_304000_NS6detail28radix_sort_block_sort_kernelINS1_36wrapped_radix_sort_block_sort_configINS0_13kernel_configILj256ELj4ELj4294967295EEEmN2at4cuda3cub6detail10OpaqueTypeILi8EEEEELb0EPKmPmPKSB_PSB_NS0_19identity_decomposerEEEvT1_T2_T3_T4_jT5_jj.has_indirect_call, 0
	.section	.AMDGPU.csdata,"",@progbits
; Kernel info:
; codeLenInByte = 3752
; TotalNumSgprs: 48
; NumVgprs: 49
; ScratchSize: 0
; MemoryBound: 1
; FloatMode: 240
; IeeeMode: 1
; LDSByteSize: 8192 bytes/workgroup (compile time only)
; SGPRBlocks: 8
; VGPRBlocks: 12
; NumSGPRsForWavesPerEU: 65
; NumVGPRsForWavesPerEU: 49
; Occupancy: 4
; WaveLimiterHint : 1
; COMPUTE_PGM_RSRC2:SCRATCH_EN: 0
; COMPUTE_PGM_RSRC2:USER_SGPR: 6
; COMPUTE_PGM_RSRC2:TRAP_HANDLER: 0
; COMPUTE_PGM_RSRC2:TGID_X_EN: 1
; COMPUTE_PGM_RSRC2:TGID_Y_EN: 0
; COMPUTE_PGM_RSRC2:TGID_Z_EN: 0
; COMPUTE_PGM_RSRC2:TIDIG_COMP_CNT: 2
	.section	.text._ZN7rocprim17ROCPRIM_304000_NS6detail45device_block_merge_mergepath_partition_kernelINS1_37wrapped_merge_sort_block_merge_configINS0_14default_configEmN2at4cuda3cub6detail10OpaqueTypeILi8EEEEEPmjNS1_19radix_merge_compareILb0ELb0EmNS0_19identity_decomposerEEEEEvT0_T1_jPSH_T2_SH_,"axG",@progbits,_ZN7rocprim17ROCPRIM_304000_NS6detail45device_block_merge_mergepath_partition_kernelINS1_37wrapped_merge_sort_block_merge_configINS0_14default_configEmN2at4cuda3cub6detail10OpaqueTypeILi8EEEEEPmjNS1_19radix_merge_compareILb0ELb0EmNS0_19identity_decomposerEEEEEvT0_T1_jPSH_T2_SH_,comdat
	.protected	_ZN7rocprim17ROCPRIM_304000_NS6detail45device_block_merge_mergepath_partition_kernelINS1_37wrapped_merge_sort_block_merge_configINS0_14default_configEmN2at4cuda3cub6detail10OpaqueTypeILi8EEEEEPmjNS1_19radix_merge_compareILb0ELb0EmNS0_19identity_decomposerEEEEEvT0_T1_jPSH_T2_SH_ ; -- Begin function _ZN7rocprim17ROCPRIM_304000_NS6detail45device_block_merge_mergepath_partition_kernelINS1_37wrapped_merge_sort_block_merge_configINS0_14default_configEmN2at4cuda3cub6detail10OpaqueTypeILi8EEEEEPmjNS1_19radix_merge_compareILb0ELb0EmNS0_19identity_decomposerEEEEEvT0_T1_jPSH_T2_SH_
	.globl	_ZN7rocprim17ROCPRIM_304000_NS6detail45device_block_merge_mergepath_partition_kernelINS1_37wrapped_merge_sort_block_merge_configINS0_14default_configEmN2at4cuda3cub6detail10OpaqueTypeILi8EEEEEPmjNS1_19radix_merge_compareILb0ELb0EmNS0_19identity_decomposerEEEEEvT0_T1_jPSH_T2_SH_
	.p2align	8
	.type	_ZN7rocprim17ROCPRIM_304000_NS6detail45device_block_merge_mergepath_partition_kernelINS1_37wrapped_merge_sort_block_merge_configINS0_14default_configEmN2at4cuda3cub6detail10OpaqueTypeILi8EEEEEPmjNS1_19radix_merge_compareILb0ELb0EmNS0_19identity_decomposerEEEEEvT0_T1_jPSH_T2_SH_,@function
_ZN7rocprim17ROCPRIM_304000_NS6detail45device_block_merge_mergepath_partition_kernelINS1_37wrapped_merge_sort_block_merge_configINS0_14default_configEmN2at4cuda3cub6detail10OpaqueTypeILi8EEEEEPmjNS1_19radix_merge_compareILb0ELb0EmNS0_19identity_decomposerEEEEEvT0_T1_jPSH_T2_SH_: ; @_ZN7rocprim17ROCPRIM_304000_NS6detail45device_block_merge_mergepath_partition_kernelINS1_37wrapped_merge_sort_block_merge_configINS0_14default_configEmN2at4cuda3cub6detail10OpaqueTypeILi8EEEEEPmjNS1_19radix_merge_compareILb0ELb0EmNS0_19identity_decomposerEEEEEvT0_T1_jPSH_T2_SH_
; %bb.0:
	s_load_dwordx2 s[0:1], s[4:5], 0x8
	v_lshl_or_b32 v0, s6, 7, v0
	s_waitcnt lgkmcnt(0)
	v_cmp_gt_u32_e32 vcc, s1, v0
	s_and_saveexec_b64 s[2:3], vcc
	s_cbranch_execz .LBB17_6
; %bb.1:
	s_load_dword s1, s[4:5], 0x1c
	s_waitcnt lgkmcnt(0)
	s_lshr_b32 s2, s1, 9
	s_and_b32 s2, s2, 0x7ffffe
	s_add_i32 s3, s2, -1
	s_sub_i32 s2, 0, s2
	v_and_b32_e32 v1, s2, v0
	v_lshlrev_b32_e32 v3, 10, v1
	v_min_u32_e32 v1, s0, v3
	v_add_u32_e32 v3, s1, v3
	v_min_u32_e32 v3, s0, v3
	v_add_u32_e32 v4, s1, v3
	v_and_b32_e32 v2, s3, v0
	v_min_u32_e32 v4, s0, v4
	v_lshlrev_b32_e32 v2, 10, v2
	v_sub_u32_e32 v5, v4, v1
	v_min_u32_e32 v6, v5, v2
	v_sub_u32_e32 v2, v3, v1
	v_sub_u32_e32 v4, v4, v3
	v_sub_u32_e64 v5, v6, v4 clamp
	v_min_u32_e32 v7, v6, v2
	v_cmp_lt_u32_e32 vcc, v5, v7
	s_and_saveexec_b64 s[0:1], vcc
	s_cbranch_execz .LBB17_5
; %bb.2:
	s_load_dwordx2 s[2:3], s[4:5], 0x0
	v_mov_b32_e32 v4, 0
	v_mov_b32_e32 v2, v4
	v_lshlrev_b64 v[8:9], 3, v[1:2]
	s_waitcnt lgkmcnt(0)
	v_mov_b32_e32 v11, s3
	v_add_co_u32_e32 v2, vcc, s2, v8
	v_addc_co_u32_e32 v8, vcc, v11, v9, vcc
	v_lshlrev_b64 v[9:10], 3, v[3:4]
	v_add_co_u32_e32 v9, vcc, s2, v9
	v_addc_co_u32_e32 v10, vcc, v11, v10, vcc
	s_mov_b64 s[2:3], 0
.LBB17_3:                               ; =>This Inner Loop Header: Depth=1
	v_add_u32_e32 v3, v7, v5
	v_lshrrev_b32_e32 v3, 1, v3
	v_lshlrev_b64 v[13:14], 3, v[3:4]
	v_mov_b32_e32 v12, v4
	v_xad_u32 v11, v3, -1, v6
	v_lshlrev_b64 v[11:12], 3, v[11:12]
	v_add_co_u32_e32 v13, vcc, v2, v13
	v_addc_co_u32_e32 v14, vcc, v8, v14, vcc
	v_add_co_u32_e32 v11, vcc, v9, v11
	v_addc_co_u32_e32 v12, vcc, v10, v12, vcc
	global_load_dwordx2 v[15:16], v[13:14], off
	global_load_dwordx2 v[17:18], v[11:12], off
	v_add_u32_e32 v11, 1, v3
	s_waitcnt vmcnt(0)
	v_cmp_gt_u64_e32 vcc, v[15:16], v[17:18]
	v_cndmask_b32_e32 v7, v7, v3, vcc
	v_cndmask_b32_e32 v5, v11, v5, vcc
	v_cmp_ge_u32_e32 vcc, v5, v7
	s_or_b64 s[2:3], vcc, s[2:3]
	s_andn2_b64 exec, exec, s[2:3]
	s_cbranch_execnz .LBB17_3
; %bb.4:
	s_or_b64 exec, exec, s[2:3]
.LBB17_5:
	s_or_b64 exec, exec, s[0:1]
	s_load_dwordx2 s[0:1], s[4:5], 0x10
	v_add_u32_e32 v2, v5, v1
	v_mov_b32_e32 v1, 0
	v_lshlrev_b64 v[0:1], 2, v[0:1]
	s_waitcnt lgkmcnt(0)
	v_mov_b32_e32 v3, s1
	v_add_co_u32_e32 v0, vcc, s0, v0
	v_addc_co_u32_e32 v1, vcc, v3, v1, vcc
	global_store_dword v[0:1], v2, off
.LBB17_6:
	s_endpgm
	.section	.rodata,"a",@progbits
	.p2align	6, 0x0
	.amdhsa_kernel _ZN7rocprim17ROCPRIM_304000_NS6detail45device_block_merge_mergepath_partition_kernelINS1_37wrapped_merge_sort_block_merge_configINS0_14default_configEmN2at4cuda3cub6detail10OpaqueTypeILi8EEEEEPmjNS1_19radix_merge_compareILb0ELb0EmNS0_19identity_decomposerEEEEEvT0_T1_jPSH_T2_SH_
		.amdhsa_group_segment_fixed_size 0
		.amdhsa_private_segment_fixed_size 0
		.amdhsa_kernarg_size 32
		.amdhsa_user_sgpr_count 6
		.amdhsa_user_sgpr_private_segment_buffer 1
		.amdhsa_user_sgpr_dispatch_ptr 0
		.amdhsa_user_sgpr_queue_ptr 0
		.amdhsa_user_sgpr_kernarg_segment_ptr 1
		.amdhsa_user_sgpr_dispatch_id 0
		.amdhsa_user_sgpr_flat_scratch_init 0
		.amdhsa_user_sgpr_private_segment_size 0
		.amdhsa_uses_dynamic_stack 0
		.amdhsa_system_sgpr_private_segment_wavefront_offset 0
		.amdhsa_system_sgpr_workgroup_id_x 1
		.amdhsa_system_sgpr_workgroup_id_y 0
		.amdhsa_system_sgpr_workgroup_id_z 0
		.amdhsa_system_sgpr_workgroup_info 0
		.amdhsa_system_vgpr_workitem_id 0
		.amdhsa_next_free_vgpr 19
		.amdhsa_next_free_sgpr 7
		.amdhsa_reserve_vcc 1
		.amdhsa_reserve_flat_scratch 0
		.amdhsa_float_round_mode_32 0
		.amdhsa_float_round_mode_16_64 0
		.amdhsa_float_denorm_mode_32 3
		.amdhsa_float_denorm_mode_16_64 3
		.amdhsa_dx10_clamp 1
		.amdhsa_ieee_mode 1
		.amdhsa_fp16_overflow 0
		.amdhsa_exception_fp_ieee_invalid_op 0
		.amdhsa_exception_fp_denorm_src 0
		.amdhsa_exception_fp_ieee_div_zero 0
		.amdhsa_exception_fp_ieee_overflow 0
		.amdhsa_exception_fp_ieee_underflow 0
		.amdhsa_exception_fp_ieee_inexact 0
		.amdhsa_exception_int_div_zero 0
	.end_amdhsa_kernel
	.section	.text._ZN7rocprim17ROCPRIM_304000_NS6detail45device_block_merge_mergepath_partition_kernelINS1_37wrapped_merge_sort_block_merge_configINS0_14default_configEmN2at4cuda3cub6detail10OpaqueTypeILi8EEEEEPmjNS1_19radix_merge_compareILb0ELb0EmNS0_19identity_decomposerEEEEEvT0_T1_jPSH_T2_SH_,"axG",@progbits,_ZN7rocprim17ROCPRIM_304000_NS6detail45device_block_merge_mergepath_partition_kernelINS1_37wrapped_merge_sort_block_merge_configINS0_14default_configEmN2at4cuda3cub6detail10OpaqueTypeILi8EEEEEPmjNS1_19radix_merge_compareILb0ELb0EmNS0_19identity_decomposerEEEEEvT0_T1_jPSH_T2_SH_,comdat
.Lfunc_end17:
	.size	_ZN7rocprim17ROCPRIM_304000_NS6detail45device_block_merge_mergepath_partition_kernelINS1_37wrapped_merge_sort_block_merge_configINS0_14default_configEmN2at4cuda3cub6detail10OpaqueTypeILi8EEEEEPmjNS1_19radix_merge_compareILb0ELb0EmNS0_19identity_decomposerEEEEEvT0_T1_jPSH_T2_SH_, .Lfunc_end17-_ZN7rocprim17ROCPRIM_304000_NS6detail45device_block_merge_mergepath_partition_kernelINS1_37wrapped_merge_sort_block_merge_configINS0_14default_configEmN2at4cuda3cub6detail10OpaqueTypeILi8EEEEEPmjNS1_19radix_merge_compareILb0ELb0EmNS0_19identity_decomposerEEEEEvT0_T1_jPSH_T2_SH_
                                        ; -- End function
	.set _ZN7rocprim17ROCPRIM_304000_NS6detail45device_block_merge_mergepath_partition_kernelINS1_37wrapped_merge_sort_block_merge_configINS0_14default_configEmN2at4cuda3cub6detail10OpaqueTypeILi8EEEEEPmjNS1_19radix_merge_compareILb0ELb0EmNS0_19identity_decomposerEEEEEvT0_T1_jPSH_T2_SH_.num_vgpr, 19
	.set _ZN7rocprim17ROCPRIM_304000_NS6detail45device_block_merge_mergepath_partition_kernelINS1_37wrapped_merge_sort_block_merge_configINS0_14default_configEmN2at4cuda3cub6detail10OpaqueTypeILi8EEEEEPmjNS1_19radix_merge_compareILb0ELb0EmNS0_19identity_decomposerEEEEEvT0_T1_jPSH_T2_SH_.num_agpr, 0
	.set _ZN7rocprim17ROCPRIM_304000_NS6detail45device_block_merge_mergepath_partition_kernelINS1_37wrapped_merge_sort_block_merge_configINS0_14default_configEmN2at4cuda3cub6detail10OpaqueTypeILi8EEEEEPmjNS1_19radix_merge_compareILb0ELb0EmNS0_19identity_decomposerEEEEEvT0_T1_jPSH_T2_SH_.numbered_sgpr, 7
	.set _ZN7rocprim17ROCPRIM_304000_NS6detail45device_block_merge_mergepath_partition_kernelINS1_37wrapped_merge_sort_block_merge_configINS0_14default_configEmN2at4cuda3cub6detail10OpaqueTypeILi8EEEEEPmjNS1_19radix_merge_compareILb0ELb0EmNS0_19identity_decomposerEEEEEvT0_T1_jPSH_T2_SH_.num_named_barrier, 0
	.set _ZN7rocprim17ROCPRIM_304000_NS6detail45device_block_merge_mergepath_partition_kernelINS1_37wrapped_merge_sort_block_merge_configINS0_14default_configEmN2at4cuda3cub6detail10OpaqueTypeILi8EEEEEPmjNS1_19radix_merge_compareILb0ELb0EmNS0_19identity_decomposerEEEEEvT0_T1_jPSH_T2_SH_.private_seg_size, 0
	.set _ZN7rocprim17ROCPRIM_304000_NS6detail45device_block_merge_mergepath_partition_kernelINS1_37wrapped_merge_sort_block_merge_configINS0_14default_configEmN2at4cuda3cub6detail10OpaqueTypeILi8EEEEEPmjNS1_19radix_merge_compareILb0ELb0EmNS0_19identity_decomposerEEEEEvT0_T1_jPSH_T2_SH_.uses_vcc, 1
	.set _ZN7rocprim17ROCPRIM_304000_NS6detail45device_block_merge_mergepath_partition_kernelINS1_37wrapped_merge_sort_block_merge_configINS0_14default_configEmN2at4cuda3cub6detail10OpaqueTypeILi8EEEEEPmjNS1_19radix_merge_compareILb0ELb0EmNS0_19identity_decomposerEEEEEvT0_T1_jPSH_T2_SH_.uses_flat_scratch, 0
	.set _ZN7rocprim17ROCPRIM_304000_NS6detail45device_block_merge_mergepath_partition_kernelINS1_37wrapped_merge_sort_block_merge_configINS0_14default_configEmN2at4cuda3cub6detail10OpaqueTypeILi8EEEEEPmjNS1_19radix_merge_compareILb0ELb0EmNS0_19identity_decomposerEEEEEvT0_T1_jPSH_T2_SH_.has_dyn_sized_stack, 0
	.set _ZN7rocprim17ROCPRIM_304000_NS6detail45device_block_merge_mergepath_partition_kernelINS1_37wrapped_merge_sort_block_merge_configINS0_14default_configEmN2at4cuda3cub6detail10OpaqueTypeILi8EEEEEPmjNS1_19radix_merge_compareILb0ELb0EmNS0_19identity_decomposerEEEEEvT0_T1_jPSH_T2_SH_.has_recursion, 0
	.set _ZN7rocprim17ROCPRIM_304000_NS6detail45device_block_merge_mergepath_partition_kernelINS1_37wrapped_merge_sort_block_merge_configINS0_14default_configEmN2at4cuda3cub6detail10OpaqueTypeILi8EEEEEPmjNS1_19radix_merge_compareILb0ELb0EmNS0_19identity_decomposerEEEEEvT0_T1_jPSH_T2_SH_.has_indirect_call, 0
	.section	.AMDGPU.csdata,"",@progbits
; Kernel info:
; codeLenInByte = 364
; TotalNumSgprs: 11
; NumVgprs: 19
; ScratchSize: 0
; MemoryBound: 0
; FloatMode: 240
; IeeeMode: 1
; LDSByteSize: 0 bytes/workgroup (compile time only)
; SGPRBlocks: 1
; VGPRBlocks: 4
; NumSGPRsForWavesPerEU: 11
; NumVGPRsForWavesPerEU: 19
; Occupancy: 10
; WaveLimiterHint : 0
; COMPUTE_PGM_RSRC2:SCRATCH_EN: 0
; COMPUTE_PGM_RSRC2:USER_SGPR: 6
; COMPUTE_PGM_RSRC2:TRAP_HANDLER: 0
; COMPUTE_PGM_RSRC2:TGID_X_EN: 1
; COMPUTE_PGM_RSRC2:TGID_Y_EN: 0
; COMPUTE_PGM_RSRC2:TGID_Z_EN: 0
; COMPUTE_PGM_RSRC2:TIDIG_COMP_CNT: 0
	.section	.text._ZN7rocprim17ROCPRIM_304000_NS6detail35device_block_merge_mergepath_kernelINS1_37wrapped_merge_sort_block_merge_configINS0_14default_configEmN2at4cuda3cub6detail10OpaqueTypeILi8EEEEEPmSC_PSA_SD_jNS1_19radix_merge_compareILb0ELb0EmNS0_19identity_decomposerEEEEEvT0_T1_T2_T3_T4_SL_jT5_PKSL_NS1_7vsmem_tE,"axG",@progbits,_ZN7rocprim17ROCPRIM_304000_NS6detail35device_block_merge_mergepath_kernelINS1_37wrapped_merge_sort_block_merge_configINS0_14default_configEmN2at4cuda3cub6detail10OpaqueTypeILi8EEEEEPmSC_PSA_SD_jNS1_19radix_merge_compareILb0ELb0EmNS0_19identity_decomposerEEEEEvT0_T1_T2_T3_T4_SL_jT5_PKSL_NS1_7vsmem_tE,comdat
	.protected	_ZN7rocprim17ROCPRIM_304000_NS6detail35device_block_merge_mergepath_kernelINS1_37wrapped_merge_sort_block_merge_configINS0_14default_configEmN2at4cuda3cub6detail10OpaqueTypeILi8EEEEEPmSC_PSA_SD_jNS1_19radix_merge_compareILb0ELb0EmNS0_19identity_decomposerEEEEEvT0_T1_T2_T3_T4_SL_jT5_PKSL_NS1_7vsmem_tE ; -- Begin function _ZN7rocprim17ROCPRIM_304000_NS6detail35device_block_merge_mergepath_kernelINS1_37wrapped_merge_sort_block_merge_configINS0_14default_configEmN2at4cuda3cub6detail10OpaqueTypeILi8EEEEEPmSC_PSA_SD_jNS1_19radix_merge_compareILb0ELb0EmNS0_19identity_decomposerEEEEEvT0_T1_T2_T3_T4_SL_jT5_PKSL_NS1_7vsmem_tE
	.globl	_ZN7rocprim17ROCPRIM_304000_NS6detail35device_block_merge_mergepath_kernelINS1_37wrapped_merge_sort_block_merge_configINS0_14default_configEmN2at4cuda3cub6detail10OpaqueTypeILi8EEEEEPmSC_PSA_SD_jNS1_19radix_merge_compareILb0ELb0EmNS0_19identity_decomposerEEEEEvT0_T1_T2_T3_T4_SL_jT5_PKSL_NS1_7vsmem_tE
	.p2align	8
	.type	_ZN7rocprim17ROCPRIM_304000_NS6detail35device_block_merge_mergepath_kernelINS1_37wrapped_merge_sort_block_merge_configINS0_14default_configEmN2at4cuda3cub6detail10OpaqueTypeILi8EEEEEPmSC_PSA_SD_jNS1_19radix_merge_compareILb0ELb0EmNS0_19identity_decomposerEEEEEvT0_T1_T2_T3_T4_SL_jT5_PKSL_NS1_7vsmem_tE,@function
_ZN7rocprim17ROCPRIM_304000_NS6detail35device_block_merge_mergepath_kernelINS1_37wrapped_merge_sort_block_merge_configINS0_14default_configEmN2at4cuda3cub6detail10OpaqueTypeILi8EEEEEPmSC_PSA_SD_jNS1_19radix_merge_compareILb0ELb0EmNS0_19identity_decomposerEEEEEvT0_T1_T2_T3_T4_SL_jT5_PKSL_NS1_7vsmem_tE: ; @_ZN7rocprim17ROCPRIM_304000_NS6detail35device_block_merge_mergepath_kernelINS1_37wrapped_merge_sort_block_merge_configINS0_14default_configEmN2at4cuda3cub6detail10OpaqueTypeILi8EEEEEPmSC_PSA_SD_jNS1_19radix_merge_compareILb0ELb0EmNS0_19identity_decomposerEEEEEvT0_T1_T2_T3_T4_SL_jT5_PKSL_NS1_7vsmem_tE
; %bb.0:
	s_load_dwordx2 s[30:31], s[4:5], 0x40
	s_load_dwordx4 s[16:19], s[4:5], 0x20
	s_add_u32 s2, s4, 64
	s_addc_u32 s3, s5, 0
	s_waitcnt lgkmcnt(0)
	s_mul_i32 s0, s31, s8
	s_add_i32 s0, s0, s7
	s_mul_i32 s0, s0, s30
	s_add_i32 s0, s0, s6
	s_cmp_ge_u32 s0, s18
	s_cbranch_scc1 .LBB18_103
; %bb.1:
	s_load_dwordx8 s[8:15], s[4:5], 0x0
	s_load_dwordx2 s[18:19], s[4:5], 0x30
	s_lshr_b32 s31, s16, 10
	s_cmp_lg_u32 s0, s31
	s_mov_b32 s1, 0
	s_cselect_b64 s[20:21], -1, 0
	s_lshl_b64 s[4:5], s[0:1], 2
	s_waitcnt lgkmcnt(0)
	s_add_u32 s4, s18, s4
	s_addc_u32 s5, s19, s5
	s_load_dwordx2 s[22:23], s[4:5], 0x0
	s_lshr_b32 s4, s17, 9
	s_and_b32 s4, s4, 0x7ffffe
	s_sub_i32 s4, 0, s4
	s_and_b32 s5, s0, s4
	s_lshl_b32 s7, s5, 10
	s_lshl_b32 s18, s0, 10
	;; [unrolled: 1-line block ×3, first 2 shown]
	s_sub_i32 s19, s18, s7
	s_add_i32 s5, s5, s17
	s_add_i32 s19, s5, s19
	s_waitcnt lgkmcnt(0)
	s_sub_i32 s24, s19, s22
	s_sub_i32 s19, s19, s23
	;; [unrolled: 1-line block ×3, first 2 shown]
	s_min_u32 s24, s16, s24
	s_addk_i32 s19, 0x400
	s_or_b32 s4, s0, s4
	s_min_u32 s7, s16, s5
	s_add_i32 s5, s5, s17
	s_cmp_eq_u32 s4, -1
	s_cselect_b32 s4, s5, s19
	s_cselect_b32 s5, s7, s23
	s_min_u32 s4, s4, s16
	s_mov_b32 s23, s1
	s_sub_i32 s19, s5, s22
	s_sub_i32 s33, s4, s24
	s_lshl_b64 s[26:27], s[22:23], 3
	s_add_u32 s5, s8, s26
	s_mov_b32 s25, s1
	s_addc_u32 s7, s9, s27
	s_lshl_b64 s[28:29], s[24:25], 3
	s_add_u32 s4, s8, s28
	v_mov_b32_e32 v19, 0
	global_load_dword v1, v19, s[2:3] offset:14
	s_addc_u32 s8, s9, s29
	s_cmp_lt_u32 s6, s30
	s_cselect_b32 s1, 12, 18
	s_add_u32 s2, s2, s1
	s_addc_u32 s3, s3, 0
	global_load_ushort v2, v19, s[2:3]
	s_cmp_eq_u32 s0, s31
	v_cmp_gt_u32_e32 vcc, s19, v0
	v_lshlrev_b32_e32 v21, 3, v0
	s_waitcnt vmcnt(1)
	v_lshrrev_b32_e32 v3, 16, v1
	v_and_b32_e32 v1, 0xffff, v1
	v_mul_lo_u32 v1, v1, v3
	s_waitcnt vmcnt(0)
	v_mul_lo_u32 v20, v1, v2
	v_add_u32_e32 v18, v20, v0
	s_cbranch_scc1 .LBB18_3
; %bb.2:
	v_mov_b32_e32 v1, s7
	v_add_co_u32_e64 v3, s[0:1], s5, v21
	v_subrev_u32_e32 v2, s19, v0
	v_addc_co_u32_e64 v1, s[0:1], 0, v1, s[0:1]
	v_lshlrev_b32_e32 v2, 3, v2
	v_mov_b32_e32 v4, s8
	v_add_co_u32_e64 v5, s[0:1], s4, v2
	v_addc_co_u32_e64 v2, s[0:1], 0, v4, s[0:1]
	v_cndmask_b32_e32 v2, v2, v1, vcc
	v_cndmask_b32_e32 v1, v5, v3, vcc
	v_lshlrev_b64 v[3:4], 3, v[18:19]
	v_mov_b32_e32 v5, s7
	v_add_co_u32_e32 v6, vcc, s5, v3
	v_addc_co_u32_e32 v5, vcc, v5, v4, vcc
	v_subrev_co_u32_e32 v3, vcc, s19, v18
	v_mov_b32_e32 v4, v19
	v_lshlrev_b64 v[3:4], 3, v[3:4]
	v_mov_b32_e32 v7, s8
	v_add_co_u32_e64 v3, s[0:1], s4, v3
	v_addc_co_u32_e64 v4, s[0:1], v7, v4, s[0:1]
	v_add_u32_e32 v7, v18, v20
	v_mov_b32_e32 v8, v19
	v_cndmask_b32_e32 v4, v4, v5, vcc
	v_cndmask_b32_e32 v3, v3, v6, vcc
	v_lshlrev_b64 v[5:6], 3, v[7:8]
	v_mov_b32_e32 v8, s7
	v_add_co_u32_e32 v9, vcc, s5, v5
	v_addc_co_u32_e32 v8, vcc, v8, v6, vcc
	v_subrev_co_u32_e32 v5, vcc, s19, v7
	v_mov_b32_e32 v6, v19
	v_lshlrev_b64 v[5:6], 3, v[5:6]
	v_mov_b32_e32 v10, s8
	v_add_co_u32_e64 v5, s[0:1], s4, v5
	v_addc_co_u32_e64 v6, s[0:1], v10, v6, s[0:1]
	v_cndmask_b32_e32 v5, v5, v9, vcc
	v_add_u32_e32 v9, v7, v20
	v_mov_b32_e32 v10, v19
	v_cndmask_b32_e32 v6, v6, v8, vcc
	v_lshlrev_b64 v[7:8], 3, v[9:10]
	v_mov_b32_e32 v10, s7
	v_add_co_u32_e32 v11, vcc, s5, v7
	v_addc_co_u32_e32 v10, vcc, v10, v8, vcc
	v_subrev_co_u32_e32 v7, vcc, s19, v9
	v_mov_b32_e32 v8, v19
	v_lshlrev_b64 v[7:8], 3, v[7:8]
	v_mov_b32_e32 v12, s8
	v_add_co_u32_e64 v7, s[0:1], s4, v7
	v_addc_co_u32_e64 v8, s[0:1], v12, v8, s[0:1]
	v_cndmask_b32_e32 v7, v7, v11, vcc
	v_add_u32_e32 v11, v9, v20
	v_mov_b32_e32 v12, v19
	;; [unrolled: 14-line block ×5, first 2 shown]
	v_cndmask_b32_e32 v13, v13, v17, vcc
	v_lshlrev_b64 v[16:17], 3, v[15:16]
	v_mov_b32_e32 v22, s7
	v_add_co_u32_e32 v23, vcc, s5, v16
	v_addc_co_u32_e32 v17, vcc, v22, v17, vcc
	v_subrev_co_u32_e32 v15, vcc, s19, v15
	v_mov_b32_e32 v16, v19
	v_lshlrev_b64 v[15:16], 3, v[15:16]
	v_mov_b32_e32 v19, s8
	v_add_co_u32_e64 v15, s[0:1], s4, v15
	v_addc_co_u32_e64 v16, s[0:1], v19, v16, s[0:1]
	v_cndmask_b32_e32 v16, v16, v17, vcc
	v_cndmask_b32_e32 v15, v15, v23, vcc
	global_load_dwordx2 v[1:2], v[1:2], off
	s_add_i32 s17, s33, s19
	global_load_dwordx2 v[3:4], v[3:4], off
	s_nop 0
	global_load_dwordx2 v[5:6], v[5:6], off
	s_nop 0
	;; [unrolled: 2-line block ×6, first 2 shown]
	global_load_dwordx2 v[15:16], v[15:16], off
	s_cbranch_execz .LBB18_4
	s_branch .LBB18_21
.LBB18_3:
                                        ; implicit-def: $vgpr1_vgpr2_vgpr3_vgpr4_vgpr5_vgpr6_vgpr7_vgpr8_vgpr9_vgpr10_vgpr11_vgpr12_vgpr13_vgpr14_vgpr15_vgpr16
                                        ; implicit-def: $sgpr17
.LBB18_4:
	s_add_i32 s17, s33, s19
	s_waitcnt vmcnt(7)
	v_mov_b32_e32 v1, 0
	v_cmp_gt_u32_e32 vcc, s17, v0
	v_mov_b32_e32 v2, v1
	s_waitcnt vmcnt(6)
	v_mov_b32_e32 v3, v1
	v_mov_b32_e32 v4, v1
	s_waitcnt vmcnt(5)
	v_mov_b32_e32 v5, v1
	;; [unrolled: 3-line block ×7, first 2 shown]
	v_mov_b32_e32 v16, v1
	s_and_saveexec_b64 s[0:1], vcc
	s_cbranch_execz .LBB18_6
; %bb.5:
	v_mov_b32_e32 v2, s7
	v_add_co_u32_e32 v4, vcc, s5, v21
	v_subrev_u32_e32 v3, s19, v0
	v_addc_co_u32_e32 v2, vcc, 0, v2, vcc
	v_lshlrev_b32_e32 v3, 3, v3
	v_mov_b32_e32 v5, s8
	v_add_co_u32_e32 v6, vcc, s4, v3
	v_addc_co_u32_e32 v3, vcc, 0, v5, vcc
	v_cmp_gt_u32_e32 vcc, s19, v0
	v_cndmask_b32_e32 v3, v3, v2, vcc
	v_cndmask_b32_e32 v2, v6, v4, vcc
	global_load_dwordx2 v[2:3], v[2:3], off
	v_mov_b32_e32 v4, v1
	v_mov_b32_e32 v5, v1
	;; [unrolled: 1-line block ×14, first 2 shown]
	s_waitcnt vmcnt(0)
	v_mov_b32_e32 v1, v2
	v_mov_b32_e32 v2, v3
	;; [unrolled: 1-line block ×16, first 2 shown]
.LBB18_6:
	s_or_b64 exec, exec, s[0:1]
	v_cmp_gt_u32_e32 vcc, s17, v18
	s_and_saveexec_b64 s[2:3], vcc
	s_cbranch_execz .LBB18_8
; %bb.7:
	v_mov_b32_e32 v19, 0
	v_lshlrev_b64 v[3:4], 3, v[18:19]
	v_mov_b32_e32 v17, s7
	v_add_co_u32_e32 v22, vcc, s5, v3
	v_addc_co_u32_e32 v17, vcc, v17, v4, vcc
	v_subrev_co_u32_e32 v3, vcc, s19, v18
	v_mov_b32_e32 v4, v19
	v_lshlrev_b64 v[3:4], 3, v[3:4]
	v_mov_b32_e32 v19, s8
	v_add_co_u32_e64 v3, s[0:1], s4, v3
	v_addc_co_u32_e64 v4, s[0:1], v19, v4, s[0:1]
	v_cndmask_b32_e32 v4, v4, v17, vcc
	v_cndmask_b32_e32 v3, v3, v22, vcc
	global_load_dwordx2 v[3:4], v[3:4], off
.LBB18_8:
	s_or_b64 exec, exec, s[2:3]
	v_add_u32_e32 v17, v18, v20
	v_cmp_gt_u32_e32 vcc, s17, v17
	s_and_saveexec_b64 s[2:3], vcc
	s_cbranch_execz .LBB18_10
; %bb.9:
	v_mov_b32_e32 v18, 0
	v_lshlrev_b64 v[5:6], 3, v[17:18]
	v_mov_b32_e32 v19, s7
	v_add_co_u32_e32 v22, vcc, s5, v5
	v_addc_co_u32_e32 v19, vcc, v19, v6, vcc
	v_subrev_co_u32_e32 v5, vcc, s19, v17
	v_mov_b32_e32 v6, v18
	v_lshlrev_b64 v[5:6], 3, v[5:6]
	v_mov_b32_e32 v18, s8
	v_add_co_u32_e64 v5, s[0:1], s4, v5
	v_addc_co_u32_e64 v6, s[0:1], v18, v6, s[0:1]
	v_cndmask_b32_e32 v6, v6, v19, vcc
	v_cndmask_b32_e32 v5, v5, v22, vcc
	global_load_dwordx2 v[5:6], v[5:6], off
.LBB18_10:
	s_or_b64 exec, exec, s[2:3]
	v_add_u32_e32 v17, v17, v20
	v_cmp_gt_u32_e32 vcc, s17, v17
	s_and_saveexec_b64 s[2:3], vcc
	s_cbranch_execz .LBB18_12
; %bb.11:
	v_mov_b32_e32 v18, 0
	v_lshlrev_b64 v[7:8], 3, v[17:18]
	v_mov_b32_e32 v19, s7
	v_add_co_u32_e32 v22, vcc, s5, v7
	v_addc_co_u32_e32 v19, vcc, v19, v8, vcc
	v_subrev_co_u32_e32 v7, vcc, s19, v17
	v_mov_b32_e32 v8, v18
	v_lshlrev_b64 v[7:8], 3, v[7:8]
	v_mov_b32_e32 v18, s8
	v_add_co_u32_e64 v7, s[0:1], s4, v7
	v_addc_co_u32_e64 v8, s[0:1], v18, v8, s[0:1]
	v_cndmask_b32_e32 v8, v8, v19, vcc
	v_cndmask_b32_e32 v7, v7, v22, vcc
	global_load_dwordx2 v[7:8], v[7:8], off
.LBB18_12:
	s_or_b64 exec, exec, s[2:3]
	v_add_u32_e32 v17, v17, v20
	v_cmp_gt_u32_e32 vcc, s17, v17
	s_and_saveexec_b64 s[2:3], vcc
	s_cbranch_execz .LBB18_14
; %bb.13:
	v_mov_b32_e32 v18, 0
	v_lshlrev_b64 v[9:10], 3, v[17:18]
	v_mov_b32_e32 v19, s7
	v_add_co_u32_e32 v22, vcc, s5, v9
	v_addc_co_u32_e32 v19, vcc, v19, v10, vcc
	v_subrev_co_u32_e32 v9, vcc, s19, v17
	v_mov_b32_e32 v10, v18
	v_lshlrev_b64 v[9:10], 3, v[9:10]
	v_mov_b32_e32 v18, s8
	v_add_co_u32_e64 v9, s[0:1], s4, v9
	v_addc_co_u32_e64 v10, s[0:1], v18, v10, s[0:1]
	v_cndmask_b32_e32 v10, v10, v19, vcc
	v_cndmask_b32_e32 v9, v9, v22, vcc
	global_load_dwordx2 v[9:10], v[9:10], off
.LBB18_14:
	s_or_b64 exec, exec, s[2:3]
	v_add_u32_e32 v17, v17, v20
	v_cmp_gt_u32_e32 vcc, s17, v17
	s_and_saveexec_b64 s[2:3], vcc
	s_cbranch_execz .LBB18_16
; %bb.15:
	v_mov_b32_e32 v18, 0
	v_lshlrev_b64 v[11:12], 3, v[17:18]
	v_mov_b32_e32 v19, s7
	v_add_co_u32_e32 v22, vcc, s5, v11
	v_addc_co_u32_e32 v19, vcc, v19, v12, vcc
	v_subrev_co_u32_e32 v11, vcc, s19, v17
	v_mov_b32_e32 v12, v18
	v_lshlrev_b64 v[11:12], 3, v[11:12]
	v_mov_b32_e32 v18, s8
	v_add_co_u32_e64 v11, s[0:1], s4, v11
	v_addc_co_u32_e64 v12, s[0:1], v18, v12, s[0:1]
	v_cndmask_b32_e32 v12, v12, v19, vcc
	v_cndmask_b32_e32 v11, v11, v22, vcc
	global_load_dwordx2 v[11:12], v[11:12], off
.LBB18_16:
	s_or_b64 exec, exec, s[2:3]
	v_add_u32_e32 v17, v17, v20
	v_cmp_gt_u32_e32 vcc, s17, v17
	s_and_saveexec_b64 s[2:3], vcc
	s_cbranch_execz .LBB18_18
; %bb.17:
	v_mov_b32_e32 v18, 0
	v_lshlrev_b64 v[13:14], 3, v[17:18]
	v_mov_b32_e32 v19, s7
	v_add_co_u32_e32 v22, vcc, s5, v13
	v_addc_co_u32_e32 v19, vcc, v19, v14, vcc
	v_subrev_co_u32_e32 v13, vcc, s19, v17
	v_mov_b32_e32 v14, v18
	v_lshlrev_b64 v[13:14], 3, v[13:14]
	v_mov_b32_e32 v18, s8
	v_add_co_u32_e64 v13, s[0:1], s4, v13
	v_addc_co_u32_e64 v14, s[0:1], v18, v14, s[0:1]
	v_cndmask_b32_e32 v14, v14, v19, vcc
	v_cndmask_b32_e32 v13, v13, v22, vcc
	global_load_dwordx2 v[13:14], v[13:14], off
.LBB18_18:
	s_or_b64 exec, exec, s[2:3]
	v_add_u32_e32 v17, v17, v20
	v_cmp_gt_u32_e32 vcc, s17, v17
	s_and_saveexec_b64 s[2:3], vcc
	s_cbranch_execz .LBB18_20
; %bb.19:
	v_mov_b32_e32 v18, 0
	v_lshlrev_b64 v[15:16], 3, v[17:18]
	v_mov_b32_e32 v19, s7
	v_add_co_u32_e32 v20, vcc, s5, v15
	v_addc_co_u32_e32 v19, vcc, v19, v16, vcc
	v_subrev_co_u32_e32 v17, vcc, s19, v17
	v_lshlrev_b64 v[15:16], 3, v[17:18]
	v_mov_b32_e32 v17, s8
	v_add_co_u32_e64 v15, s[0:1], s4, v15
	v_addc_co_u32_e64 v16, s[0:1], v17, v16, s[0:1]
	v_cndmask_b32_e32 v16, v16, v19, vcc
	v_cndmask_b32_e32 v15, v15, v20, vcc
	global_load_dwordx2 v[15:16], v[15:16], off
.LBB18_20:
	s_or_b64 exec, exec, s[2:3]
.LBB18_21:
	v_min_u32_e32 v18, s17, v21
	v_sub_u32_e64 v17, v18, s33 clamp
	v_min_u32_e32 v19, s19, v18
	v_cmp_lt_u32_e32 vcc, v17, v19
	s_waitcnt vmcnt(0)
	ds_write2st64_b64 v21, v[1:2], v[3:4] offset1:2
	ds_write2st64_b64 v21, v[5:6], v[7:8] offset0:4 offset1:6
	ds_write2st64_b64 v21, v[9:10], v[11:12] offset0:8 offset1:10
	;; [unrolled: 1-line block ×3, first 2 shown]
	s_waitcnt lgkmcnt(0)
	s_barrier
	s_and_saveexec_b64 s[0:1], vcc
	s_cbranch_execz .LBB18_25
; %bb.22:
	v_lshlrev_b32_e32 v20, 3, v18
	v_lshl_add_u32 v20, s19, 3, v20
	s_mov_b64 s[2:3], 0
.LBB18_23:                              ; =>This Inner Loop Header: Depth=1
	v_add_u32_e32 v22, v19, v17
	v_lshrrev_b32_e32 v26, 1, v22
	v_not_b32_e32 v22, v26
	v_lshlrev_b32_e32 v23, 3, v26
	v_lshl_add_u32 v24, v22, 3, v20
	ds_read_b64 v[22:23], v23
	ds_read_b64 v[24:25], v24
	v_add_u32_e32 v27, 1, v26
	s_waitcnt lgkmcnt(0)
	v_cmp_gt_u64_e32 vcc, v[22:23], v[24:25]
	v_cndmask_b32_e32 v19, v19, v26, vcc
	v_cndmask_b32_e32 v17, v27, v17, vcc
	v_cmp_ge_u32_e32 vcc, v17, v19
	s_or_b64 s[2:3], vcc, s[2:3]
	s_andn2_b64 exec, exec, s[2:3]
	s_cbranch_execnz .LBB18_23
; %bb.24:
	s_or_b64 exec, exec, s[2:3]
.LBB18_25:
	s_or_b64 exec, exec, s[0:1]
	v_sub_u32_e32 v18, v18, v17
	v_add_u32_e32 v18, s19, v18
	v_cmp_ge_u32_e32 vcc, s19, v17
	v_cmp_ge_u32_e64 s[0:1], s17, v18
	s_or_b64 s[0:1], vcc, s[0:1]
	v_mov_b32_e32 v22, 0
	v_mov_b32_e32 v23, 0
	;; [unrolled: 1-line block ×8, first 2 shown]
	s_and_saveexec_b64 s[30:31], s[0:1]
	s_cbranch_execz .LBB18_31
; %bb.26:
	v_cmp_gt_u32_e32 vcc, s19, v17
                                        ; implicit-def: $vgpr1_vgpr2
	s_and_saveexec_b64 s[0:1], vcc
; %bb.27:
	v_lshlrev_b32_e32 v1, 3, v17
	ds_read_b64 v[1:2], v1
; %bb.28:
	s_or_b64 exec, exec, s[0:1]
	v_cmp_le_u32_e64 s[0:1], s17, v18
	v_cmp_gt_u32_e64 s[2:3], s17, v18
                                        ; implicit-def: $vgpr3_vgpr4
	s_and_saveexec_b64 s[4:5], s[2:3]
; %bb.29:
	v_lshlrev_b32_e32 v3, 3, v18
	ds_read_b64 v[3:4], v3
; %bb.30:
	s_or_b64 exec, exec, s[4:5]
	s_waitcnt lgkmcnt(0)
	v_cmp_le_u64_e64 s[2:3], v[1:2], v[3:4]
	v_mov_b32_e32 v26, s17
	s_and_b64 s[2:3], vcc, s[2:3]
	s_or_b64 vcc, s[0:1], s[2:3]
	v_mov_b32_e32 v34, s19
	v_cndmask_b32_e32 v22, v18, v17, vcc
	v_cndmask_b32_e32 v5, v26, v34, vcc
	v_add_u32_e32 v9, 1, v22
	v_add_u32_e32 v5, -1, v5
	v_min_u32_e32 v5, v9, v5
	v_lshlrev_b32_e32 v5, 3, v5
	ds_read_b64 v[5:6], v5
	v_cndmask_b32_e32 v14, v17, v9, vcc
	v_cndmask_b32_e32 v13, v9, v18, vcc
	v_cmp_gt_u32_e64 s[4:5], s19, v14
	v_cmp_le_u32_e64 s[0:1], s17, v13
	s_waitcnt lgkmcnt(0)
	v_cndmask_b32_e32 v8, v6, v4, vcc
	v_cndmask_b32_e32 v7, v5, v3, vcc
	;; [unrolled: 1-line block ×4, first 2 shown]
	v_cmp_le_u64_e64 s[2:3], v[5:6], v[7:8]
	v_cndmask_b32_e32 v2, v4, v2, vcc
	s_and_b64 s[2:3], s[4:5], s[2:3]
	s_or_b64 s[0:1], s[0:1], s[2:3]
	v_cndmask_b32_e64 v23, v13, v14, s[0:1]
	v_cndmask_b32_e64 v9, v26, v34, s[0:1]
	v_add_u32_e32 v15, 1, v23
	v_add_u32_e32 v9, -1, v9
	v_min_u32_e32 v9, v15, v9
	v_lshlrev_b32_e32 v9, 3, v9
	ds_read_b64 v[9:10], v9
	v_cndmask_b32_e64 v18, v14, v15, s[0:1]
	v_cndmask_b32_e64 v17, v15, v13, s[0:1]
	v_cmp_gt_u32_e64 s[6:7], s19, v18
	v_cmp_le_u32_e64 s[2:3], s17, v17
	s_waitcnt lgkmcnt(0)
	v_cndmask_b32_e64 v12, v10, v8, s[0:1]
	v_cndmask_b32_e64 v11, v9, v7, s[0:1]
	v_cndmask_b32_e64 v10, v6, v10, s[0:1]
	v_cndmask_b32_e64 v9, v5, v9, s[0:1]
	v_cmp_le_u64_e64 s[4:5], v[9:10], v[11:12]
	v_cndmask_b32_e32 v1, v3, v1, vcc
	s_and_b64 s[4:5], s[6:7], s[4:5]
	s_or_b64 s[2:3], s[2:3], s[4:5]
	v_cndmask_b32_e64 v24, v17, v18, s[2:3]
	v_cndmask_b32_e64 v13, v26, v34, s[2:3]
	v_add_u32_e32 v19, 1, v24
	v_add_u32_e32 v13, -1, v13
	v_min_u32_e32 v13, v19, v13
	v_lshlrev_b32_e32 v13, 3, v13
	ds_read_b64 v[13:14], v13
	v_cndmask_b32_e64 v28, v18, v19, s[2:3]
	v_cndmask_b32_e64 v27, v19, v17, s[2:3]
	v_cmp_gt_u32_e64 s[8:9], s19, v28
	v_cmp_le_u32_e64 s[4:5], s17, v27
	s_waitcnt lgkmcnt(0)
	v_cndmask_b32_e64 v16, v14, v12, s[2:3]
	v_cndmask_b32_e64 v15, v13, v11, s[2:3]
	;; [unrolled: 1-line block ×4, first 2 shown]
	v_cmp_le_u64_e64 s[6:7], v[13:14], v[15:16]
	v_cndmask_b32_e64 v4, v8, v6, s[0:1]
	s_and_b64 s[6:7], s[8:9], s[6:7]
	s_or_b64 s[4:5], s[4:5], s[6:7]
	v_cndmask_b32_e64 v25, v27, v28, s[4:5]
	v_cndmask_b32_e64 v17, v26, v34, s[4:5]
	v_add_u32_e32 v29, 1, v25
	v_add_u32_e32 v17, -1, v17
	v_min_u32_e32 v17, v29, v17
	v_lshlrev_b32_e32 v17, 3, v17
	ds_read_b64 v[17:18], v17
	v_cndmask_b32_e64 v33, v28, v29, s[4:5]
	v_cndmask_b32_e64 v32, v29, v27, s[4:5]
	v_cmp_gt_u32_e64 s[8:9], s19, v33
	v_cmp_le_u32_e32 vcc, s17, v32
	s_waitcnt lgkmcnt(0)
	v_cndmask_b32_e64 v20, v18, v16, s[4:5]
	v_cndmask_b32_e64 v19, v17, v15, s[4:5]
	;; [unrolled: 1-line block ×4, first 2 shown]
	v_cmp_le_u64_e64 s[6:7], v[17:18], v[19:20]
	v_cndmask_b32_e64 v6, v12, v10, s[2:3]
	s_and_b64 s[6:7], s[8:9], s[6:7]
	s_or_b64 vcc, vcc, s[6:7]
	v_cndmask_b32_e32 v27, v32, v33, vcc
	v_cndmask_b32_e32 v3, v26, v34, vcc
	v_add_u32_e32 v35, 1, v27
	v_add_u32_e32 v3, -1, v3
	v_min_u32_e32 v3, v35, v3
	v_lshlrev_b32_e32 v3, 3, v3
	ds_read_b64 v[28:29], v3
	v_cndmask_b32_e64 v3, v7, v5, s[0:1]
	v_cndmask_b32_e64 v5, v11, v9, s[2:3]
	;; [unrolled: 1-line block ×3, first 2 shown]
	v_cndmask_b32_e32 v10, v20, v18, vcc
	s_waitcnt lgkmcnt(0)
	v_cndmask_b32_e32 v12, v29, v20, vcc
	v_cndmask_b32_e32 v11, v28, v19, vcc
	v_cndmask_b32_e32 v31, v18, v29, vcc
	v_cndmask_b32_e32 v30, v17, v28, vcc
	v_cndmask_b32_e32 v29, v35, v32, vcc
	v_cndmask_b32_e32 v35, v33, v35, vcc
	v_cmp_le_u64_e64 s[2:3], v[30:31], v[11:12]
	v_cmp_gt_u32_e64 s[6:7], s19, v35
	v_cmp_le_u32_e64 s[0:1], s17, v29
	s_and_b64 s[2:3], s[6:7], s[2:3]
	s_or_b64 s[0:1], s[0:1], s[2:3]
	v_cndmask_b32_e64 v28, v29, v35, s[0:1]
	v_cndmask_b32_e64 v7, v26, v34, s[0:1]
	v_add_u32_e32 v36, 1, v28
	v_add_u32_e32 v7, -1, v7
	v_min_u32_e32 v7, v36, v7
	v_lshlrev_b32_e32 v7, 3, v7
	ds_read_b64 v[32:33], v7
	v_cndmask_b32_e64 v7, v15, v13, s[4:5]
	v_cndmask_b32_e32 v9, v19, v17, vcc
	s_waitcnt lgkmcnt(0)
	v_cndmask_b32_e64 v16, v33, v12, s[0:1]
	v_cndmask_b32_e64 v15, v32, v11, s[0:1]
	;; [unrolled: 1-line block ×5, first 2 shown]
	v_cmp_le_u64_e64 s[2:3], v[17:18], v[15:16]
	v_cndmask_b32_e64 v32, v36, v29, s[0:1]
	v_cmp_gt_u32_e64 s[4:5], s19, v33
	v_cmp_le_u32_e32 vcc, s17, v32
	s_and_b64 s[2:3], s[4:5], s[2:3]
	s_or_b64 vcc, vcc, s[2:3]
	v_cndmask_b32_e32 v29, v32, v33, vcc
	v_cndmask_b32_e32 v13, v26, v34, vcc
	v_add_u32_e32 v26, 1, v29
	v_add_u32_e32 v13, -1, v13
	v_min_u32_e32 v13, v26, v13
	v_lshlrev_b32_e32 v13, 3, v13
	ds_read_b64 v[19:20], v13
	v_cndmask_b32_e32 v14, v16, v18, vcc
	v_cndmask_b32_e32 v13, v15, v17, vcc
	v_cndmask_b32_e64 v12, v12, v31, s[0:1]
	v_cndmask_b32_e64 v11, v11, v30, s[0:1]
	s_waitcnt lgkmcnt(0)
	v_cndmask_b32_e32 v16, v20, v16, vcc
	v_cndmask_b32_e32 v15, v19, v15, vcc
	;; [unrolled: 1-line block ×5, first 2 shown]
	v_cmp_le_u64_e64 s[0:1], v[17:18], v[15:16]
	v_cndmask_b32_e32 v19, v26, v32, vcc
	v_cmp_gt_u32_e64 s[2:3], s19, v20
	v_cmp_le_u32_e32 vcc, s17, v19
	s_and_b64 s[0:1], s[2:3], s[0:1]
	s_or_b64 vcc, vcc, s[0:1]
	v_cndmask_b32_e32 v26, v19, v20, vcc
	v_cndmask_b32_e32 v16, v16, v18, vcc
	;; [unrolled: 1-line block ×3, first 2 shown]
.LBB18_31:
	s_or_b64 exec, exec, s[30:31]
	s_add_u32 s8, s12, s26
	s_addc_u32 s9, s13, s27
	s_add_u32 s6, s12, s28
	v_cndmask_b32_e64 v17, 0, 1, s[20:21]
	s_addc_u32 s7, s13, s29
	v_cmp_gt_u32_e64 s[4:5], s19, v0
	v_cmp_ne_u32_e64 s[0:1], 1, v17
	s_andn2_b64 vcc, exec, s[20:21]
	v_cmp_le_u32_e64 s[2:3], s19, v0
	s_barrier
	s_cbranch_vccnz .LBB18_33
; %bb.32:
	v_subrev_u32_e32 v17, s19, v0
	v_lshlrev_b32_e32 v17, 3, v17
	v_mov_b32_e32 v18, s7
	v_add_co_u32_e32 v17, vcc, s6, v17
	v_addc_co_u32_e32 v18, vcc, 0, v18, vcc
	v_mov_b32_e32 v19, s9
	v_add_co_u32_e32 v20, vcc, s8, v21
	v_addc_co_u32_e32 v19, vcc, 0, v19, vcc
	v_cndmask_b32_e64 v18, v18, v19, s[4:5]
	v_or_b32_e32 v19, 0x80, v0
	v_cndmask_b32_e64 v17, v17, v20, s[4:5]
	v_subrev_u32_e32 v20, s19, v19
	v_min_u32_e32 v20, v19, v20
	v_cmp_gt_u32_e32 vcc, s19, v19
	v_mov_b32_e32 v42, s6
	v_mov_b32_e32 v43, s8
	;; [unrolled: 1-line block ×4, first 2 shown]
	v_cndmask_b32_e32 v19, v42, v43, vcc
	v_lshlrev_b32_e32 v20, 3, v20
	v_cndmask_b32_e32 v30, v40, v41, vcc
	v_add_co_u32_e32 v19, vcc, v19, v20
	v_addc_co_u32_e32 v20, vcc, 0, v30, vcc
	v_or_b32_e32 v30, 0x100, v0
	v_subrev_u32_e32 v31, s19, v30
	v_min_u32_e32 v31, v30, v31
	v_cmp_gt_u32_e32 vcc, s19, v30
	v_cndmask_b32_e32 v30, v42, v43, vcc
	v_lshlrev_b32_e32 v31, 3, v31
	v_cndmask_b32_e32 v32, v40, v41, vcc
	v_add_co_u32_e32 v30, vcc, v30, v31
	v_addc_co_u32_e32 v31, vcc, 0, v32, vcc
	v_or_b32_e32 v32, 0x180, v0
	v_subrev_u32_e32 v33, s19, v32
	v_min_u32_e32 v33, v32, v33
	v_cmp_gt_u32_e32 vcc, s19, v32
	v_cndmask_b32_e32 v32, v42, v43, vcc
	v_lshlrev_b32_e32 v33, 3, v33
	v_cndmask_b32_e32 v34, v40, v41, vcc
	v_add_co_u32_e32 v32, vcc, v32, v33
	v_addc_co_u32_e32 v33, vcc, 0, v34, vcc
	v_or_b32_e32 v34, 0x200, v0
	v_subrev_u32_e32 v35, s19, v34
	v_min_u32_e32 v35, v34, v35
	v_cmp_gt_u32_e32 vcc, s19, v34
	v_cndmask_b32_e32 v34, v42, v43, vcc
	v_lshlrev_b32_e32 v35, 3, v35
	v_cndmask_b32_e32 v36, v40, v41, vcc
	v_add_co_u32_e32 v34, vcc, v34, v35
	v_addc_co_u32_e32 v35, vcc, 0, v36, vcc
	v_or_b32_e32 v36, 0x280, v0
	v_subrev_u32_e32 v37, s19, v36
	v_min_u32_e32 v37, v36, v37
	v_cmp_gt_u32_e32 vcc, s19, v36
	v_cndmask_b32_e32 v36, v42, v43, vcc
	v_lshlrev_b32_e32 v37, 3, v37
	v_cndmask_b32_e32 v38, v40, v41, vcc
	v_add_co_u32_e32 v36, vcc, v36, v37
	v_addc_co_u32_e32 v37, vcc, 0, v38, vcc
	v_or_b32_e32 v38, 0x300, v0
	v_subrev_u32_e32 v39, s19, v38
	v_min_u32_e32 v39, v38, v39
	v_cmp_gt_u32_e32 vcc, s19, v38
	global_load_dwordx2 v[17:18], v[17:18], off
	v_cndmask_b32_e32 v38, v42, v43, vcc
	global_load_dwordx2 v[19:20], v[19:20], off
	v_lshlrev_b32_e32 v39, 3, v39
	global_load_dwordx2 v[30:31], v[30:31], off
	v_cndmask_b32_e32 v44, v40, v41, vcc
	global_load_dwordx2 v[32:33], v[32:33], off
	v_add_co_u32_e32 v38, vcc, v38, v39
	global_load_dwordx2 v[34:35], v[34:35], off
	v_addc_co_u32_e32 v39, vcc, 0, v44, vcc
	global_load_dwordx2 v[36:37], v[36:37], off
	s_nop 0
	global_load_dwordx2 v[38:39], v[38:39], off
	s_mov_b64 s[4:5], -1
	s_waitcnt vmcnt(5)
	ds_write2st64_b64 v21, v[17:18], v[19:20] offset1:2
	s_waitcnt vmcnt(3)
	ds_write2st64_b64 v21, v[30:31], v[32:33] offset0:4 offset1:6
	s_waitcnt vmcnt(1)
	ds_write2st64_b64 v21, v[34:35], v[36:37] offset0:8 offset1:10
	s_waitcnt vmcnt(0)
	ds_write_b64 v21, v[38:39] offset:6144
	v_or_b32_e32 v30, 0x380, v0
	v_subrev_u32_e32 v17, s19, v30
	v_cmp_gt_u32_e32 vcc, s19, v30
	v_min_u32_e32 v19, v30, v17
	v_cndmask_b32_e32 v18, v40, v41, vcc
	v_cndmask_b32_e32 v17, v42, v43, vcc
	s_cbranch_execz .LBB18_34
	s_branch .LBB18_65
.LBB18_33:
	s_mov_b64 s[4:5], 0
                                        ; implicit-def: $vgpr30
                                        ; implicit-def: $vgpr17_vgpr18
                                        ; implicit-def: $vgpr19
.LBB18_34:
	s_mov_b64 s[4:5], 0
                                        ; implicit-def: $vgpr17_vgpr18
	s_and_saveexec_b64 s[26:27], s[2:3]
	s_xor_b64 s[2:3], exec, s[26:27]
	s_cbranch_execnz .LBB18_104
; %bb.35:
	s_andn2_saveexec_b64 s[2:3], s[2:3]
	s_cbranch_execnz .LBB18_107
.LBB18_36:
	s_or_b64 exec, exec, s[2:3]
	s_and_saveexec_b64 s[2:3], s[4:5]
	s_cbranch_execz .LBB18_38
.LBB18_37:
	global_load_dwordx2 v[17:18], v[17:18], off
	s_waitcnt vmcnt(0)
	ds_write_b64 v21, v[17:18]
.LBB18_38:
	s_or_b64 exec, exec, s[2:3]
	v_or_b32_e32 v19, 0x80, v0
	v_mov_b32_e32 v17, s22
	v_cmp_le_u32_e32 vcc, s19, v19
	s_mov_b64 s[2:3], -1
	v_mov_b32_e32 v18, s23
	s_and_saveexec_b64 s[4:5], vcc
; %bb.39:
	v_subrev_u32_e32 v19, s19, v19
	v_cmp_gt_u32_e32 vcc, s33, v19
	v_mov_b32_e32 v17, s24
	v_mov_b32_e32 v18, s25
	s_orn2_b64 s[2:3], vcc, exec
; %bb.40:
	s_or_b64 exec, exec, s[4:5]
	s_and_saveexec_b64 s[4:5], s[2:3]
	s_cbranch_execz .LBB18_42
; %bb.41:
	v_lshlrev_b64 v[17:18], 3, v[17:18]
	v_mov_b32_e32 v20, s13
	v_add_co_u32_e32 v17, vcc, s12, v17
	v_addc_co_u32_e32 v18, vcc, v20, v18, vcc
	v_lshlrev_b32_e32 v19, 3, v19
	v_add_co_u32_e32 v17, vcc, v17, v19
	v_addc_co_u32_e32 v18, vcc, 0, v18, vcc
	global_load_dwordx2 v[17:18], v[17:18], off
	s_waitcnt vmcnt(0)
	ds_write_b64 v21, v[17:18] offset:1024
.LBB18_42:
	s_or_b64 exec, exec, s[4:5]
	v_or_b32_e32 v19, 0x100, v0
	v_mov_b32_e32 v17, s22
	v_cmp_le_u32_e32 vcc, s19, v19
	s_mov_b64 s[2:3], -1
	v_mov_b32_e32 v18, s23
	s_and_saveexec_b64 s[4:5], vcc
; %bb.43:
	v_subrev_u32_e32 v19, s19, v19
	v_cmp_gt_u32_e32 vcc, s33, v19
	v_mov_b32_e32 v17, s24
	v_mov_b32_e32 v18, s25
	s_orn2_b64 s[2:3], vcc, exec
; %bb.44:
	s_or_b64 exec, exec, s[4:5]
	s_and_saveexec_b64 s[4:5], s[2:3]
	s_cbranch_execz .LBB18_46
; %bb.45:
	v_lshlrev_b64 v[17:18], 3, v[17:18]
	v_mov_b32_e32 v20, s13
	v_add_co_u32_e32 v17, vcc, s12, v17
	v_addc_co_u32_e32 v18, vcc, v20, v18, vcc
	v_lshlrev_b32_e32 v19, 3, v19
	v_add_co_u32_e32 v17, vcc, v17, v19
	v_addc_co_u32_e32 v18, vcc, 0, v18, vcc
	global_load_dwordx2 v[17:18], v[17:18], off
	s_waitcnt vmcnt(0)
	ds_write_b64 v21, v[17:18] offset:2048
.LBB18_46:
	;; [unrolled: 29-line block ×6, first 2 shown]
	s_or_b64 exec, exec, s[4:5]
	v_or_b32_e32 v30, 0x380, v0
	v_mov_b32_e32 v18, s9
	v_cmp_le_u32_e32 vcc, s19, v30
	s_mov_b64 s[4:5], -1
	v_mov_b32_e32 v17, s8
	v_mov_b32_e32 v19, v30
	s_and_saveexec_b64 s[2:3], vcc
; %bb.63:
	v_subrev_u32_e32 v19, s19, v30
	v_cmp_gt_u32_e32 vcc, s33, v19
	v_mov_b32_e32 v18, s7
	v_mov_b32_e32 v17, s6
	s_orn2_b64 s[4:5], vcc, exec
; %bb.64:
	s_or_b64 exec, exec, s[2:3]
.LBB18_65:
	s_and_saveexec_b64 s[2:3], s[4:5]
	s_cbranch_execz .LBB18_67
; %bb.66:
	v_mov_b32_e32 v20, 0
	v_lshlrev_b64 v[19:20], 3, v[19:20]
	v_add_co_u32_e32 v17, vcc, v17, v19
	v_addc_co_u32_e32 v18, vcc, v18, v20, vcc
	global_load_dwordx2 v[17:18], v[17:18], off
	v_lshlrev_b32_e32 v19, 3, v30
	s_waitcnt vmcnt(0)
	ds_write_b64 v19, v[17:18]
.LBB18_67:
	s_or_b64 exec, exec, s[2:3]
	s_and_b64 vcc, exec, s[0:1]
	v_add_u32_e32 v17, s18, v21
	s_waitcnt lgkmcnt(0)
	s_barrier
	s_cbranch_vccnz .LBB18_69
; %bb.68:
	v_lshlrev_b32_e32 v30, 3, v22
	v_lshlrev_b32_e32 v32, 3, v23
	;; [unrolled: 1-line block ×7, first 2 shown]
	v_mov_b32_e32 v18, 0
	ds_read_b64 v[30:31], v30
	ds_read_b64 v[32:33], v32
	;; [unrolled: 1-line block ×7, first 2 shown]
	v_lshlrev_b64 v[19:20], 3, v[17:18]
	v_mov_b32_e32 v44, s15
	v_add_co_u32_e32 v19, vcc, s14, v19
	v_addc_co_u32_e32 v20, vcc, v44, v20, vcc
	s_mov_b64 s[0:1], -1
	s_waitcnt lgkmcnt(5)
	global_store_dwordx4 v[19:20], v[30:33], off
	s_waitcnt lgkmcnt(3)
	global_store_dwordx4 v[19:20], v[34:37], off offset:16
	s_waitcnt lgkmcnt(1)
	global_store_dwordx4 v[19:20], v[38:41], off offset:32
	s_waitcnt lgkmcnt(0)
	global_store_dwordx2 v[19:20], v[42:43], off offset:48
	s_cbranch_execz .LBB18_70
	s_branch .LBB18_87
.LBB18_69:
	s_mov_b64 s[0:1], 0
.LBB18_70:
	v_cmp_gt_u32_e32 vcc, s17, v21
	s_and_saveexec_b64 s[2:3], vcc
	s_cbranch_execz .LBB18_72
; %bb.71:
	v_lshlrev_b32_e32 v22, 3, v22
	v_mov_b32_e32 v18, 0
	ds_read_b64 v[30:31], v22
	v_lshlrev_b64 v[18:19], 3, v[17:18]
	v_mov_b32_e32 v20, s15
	v_add_co_u32_e32 v18, vcc, s14, v18
	v_addc_co_u32_e32 v19, vcc, v20, v19, vcc
	s_waitcnt lgkmcnt(0)
	global_store_dwordx2 v[18:19], v[30:31], off
.LBB18_72:
	s_or_b64 exec, exec, s[2:3]
	v_or_b32_e32 v18, 1, v21
	v_cmp_gt_u32_e32 vcc, s17, v18
	s_and_saveexec_b64 s[2:3], vcc
	s_cbranch_execz .LBB18_74
; %bb.73:
	v_lshlrev_b32_e32 v22, 3, v23
	v_mov_b32_e32 v18, 0
	ds_read_b64 v[22:23], v22
	v_lshlrev_b64 v[18:19], 3, v[17:18]
	v_mov_b32_e32 v20, s15
	v_add_co_u32_e32 v18, vcc, s14, v18
	v_addc_co_u32_e32 v19, vcc, v20, v19, vcc
	s_waitcnt lgkmcnt(0)
	global_store_dwordx2 v[18:19], v[22:23], off offset:8
.LBB18_74:
	s_or_b64 exec, exec, s[2:3]
	v_or_b32_e32 v18, 2, v21
	v_cmp_gt_u32_e32 vcc, s17, v18
	s_and_saveexec_b64 s[2:3], vcc
	s_cbranch_execz .LBB18_76
; %bb.75:
	v_lshlrev_b32_e32 v22, 3, v24
	v_mov_b32_e32 v18, 0
	ds_read_b64 v[22:23], v22
	v_lshlrev_b64 v[18:19], 3, v[17:18]
	v_mov_b32_e32 v20, s15
	v_add_co_u32_e32 v18, vcc, s14, v18
	v_addc_co_u32_e32 v19, vcc, v20, v19, vcc
	s_waitcnt lgkmcnt(0)
	global_store_dwordx2 v[18:19], v[22:23], off offset:16
.LBB18_76:
	;; [unrolled: 16-line block ×6, first 2 shown]
	s_or_b64 exec, exec, s[2:3]
	v_or_b32_e32 v18, 7, v21
	v_cmp_gt_u32_e32 vcc, s17, v18
	s_and_saveexec_b64 s[2:3], vcc
; %bb.85:
	v_mov_b32_e32 v18, 0
	s_or_b64 s[0:1], s[0:1], exec
; %bb.86:
	s_or_b64 exec, exec, s[2:3]
.LBB18_87:
	s_and_saveexec_b64 s[2:3], s[0:1]
	s_cbranch_execz .LBB18_89
; %bb.88:
	v_lshlrev_b32_e32 v19, 3, v26
	ds_read_b64 v[19:20], v19
	v_lshlrev_b64 v[17:18], 3, v[17:18]
	v_mov_b32_e32 v22, s15
	v_add_co_u32_e32 v17, vcc, s14, v17
	v_addc_co_u32_e32 v18, vcc, v22, v18, vcc
	s_waitcnt lgkmcnt(0)
	global_store_dwordx2 v[17:18], v[19:20], off offset:56
.LBB18_89:
	s_or_b64 exec, exec, s[2:3]
	v_lshrrev_b32_e32 v17, 2, v0
	v_lshlrev_b32_e32 v18, 3, v21
	v_lshl_add_u32 v18, v17, 3, v18
	s_waitcnt vmcnt(0)
	s_barrier
	s_barrier
	ds_write2_b64 v18, v[1:2], v[3:4] offset1:1
	ds_write2_b64 v18, v[5:6], v[7:8] offset0:2 offset1:3
	ds_write2_b64 v18, v[9:10], v[11:12] offset0:4 offset1:5
	;; [unrolled: 1-line block ×3, first 2 shown]
	v_and_b32_e32 v1, 24, v17
	v_or_b32_e32 v24, 0x80, v0
	v_add_u32_e32 v25, v1, v21
	v_lshrrev_b32_e32 v1, 2, v24
	v_and_b32_e32 v1, 56, v1
	v_or_b32_e32 v23, 0x100, v0
	v_add_u32_e32 v5, v1, v21
	v_lshrrev_b32_e32 v1, 2, v23
	;; [unrolled: 4-line block ×5, first 2 shown]
	v_and_b32_e32 v1, 0xb8, v1
	v_or_b32_e32 v18, 0x300, v0
	s_mov_b32 s19, 0
	v_add_u32_e32 v26, v1, v21
	v_lshrrev_b32_e32 v1, 2, v18
	s_lshl_b64 s[0:1], s[18:19], 3
	v_and_b32_e32 v1, 0xd8, v1
	v_or_b32_e32 v17, 0x380, v0
	s_add_u32 s0, s10, s0
	v_add_u32_e32 v27, v1, v21
	v_lshrrev_b32_e32 v1, 2, v17
	s_addc_u32 s1, s11, s1
	v_and_b32_e32 v1, 0xf8, v1
	v_add_u32_e32 v28, v1, v21
	v_mov_b32_e32 v2, s1
	v_add_co_u32_e32 v1, vcc, s0, v21
	v_addc_co_u32_e32 v2, vcc, 0, v2, vcc
	s_and_b64 vcc, exec, s[20:21]
	s_waitcnt lgkmcnt(0)
	s_cbranch_vccz .LBB18_91
; %bb.90:
	s_barrier
	ds_read_b64 v[9:10], v25
	ds_read_b64 v[11:12], v5 offset:1024
	ds_read_b64 v[13:14], v6 offset:2048
	;; [unrolled: 1-line block ×7, first 2 shown]
	s_waitcnt lgkmcnt(7)
	global_store_dwordx2 v[1:2], v[9:10], off
	s_waitcnt lgkmcnt(6)
	global_store_dwordx2 v[1:2], v[11:12], off offset:1024
	s_waitcnt lgkmcnt(5)
	global_store_dwordx2 v[1:2], v[13:14], off offset:2048
	;; [unrolled: 2-line block ×3, first 2 shown]
	v_add_co_u32_e32 v9, vcc, 0x1000, v1
	v_addc_co_u32_e32 v10, vcc, 0, v2, vcc
	s_waitcnt lgkmcnt(3)
	global_store_dwordx2 v[9:10], v[29:30], off
	s_waitcnt lgkmcnt(2)
	global_store_dwordx2 v[9:10], v[31:32], off offset:1024
	s_waitcnt lgkmcnt(1)
	global_store_dwordx2 v[9:10], v[33:34], off offset:2048
	s_mov_b64 s[0:1], -1
	s_cbranch_execz .LBB18_92
	s_branch .LBB18_101
.LBB18_91:
	s_mov_b64 s[0:1], 0
                                        ; implicit-def: $vgpr3_vgpr4
.LBB18_92:
	s_waitcnt vmcnt(0) lgkmcnt(0)
	s_barrier
	ds_read_b64 v[15:16], v5 offset:1024
	ds_read_b64 v[13:14], v6 offset:2048
	;; [unrolled: 1-line block ×7, first 2 shown]
	s_sub_i32 s2, s16, s18
	v_cmp_gt_u32_e32 vcc, s2, v0
	s_and_saveexec_b64 s[0:1], vcc
	s_cbranch_execnz .LBB18_108
; %bb.93:
	s_or_b64 exec, exec, s[0:1]
	v_cmp_gt_u32_e32 vcc, s2, v24
	s_and_saveexec_b64 s[0:1], vcc
	s_cbranch_execnz .LBB18_109
.LBB18_94:
	s_or_b64 exec, exec, s[0:1]
	v_cmp_gt_u32_e32 vcc, s2, v23
	s_and_saveexec_b64 s[0:1], vcc
	s_cbranch_execnz .LBB18_110
.LBB18_95:
	s_or_b64 exec, exec, s[0:1]
	v_cmp_gt_u32_e32 vcc, s2, v22
	s_and_saveexec_b64 s[0:1], vcc
	s_cbranch_execnz .LBB18_111
.LBB18_96:
	s_or_b64 exec, exec, s[0:1]
	v_cmp_gt_u32_e32 vcc, s2, v20
	s_and_saveexec_b64 s[0:1], vcc
	s_cbranch_execnz .LBB18_112
.LBB18_97:
	s_or_b64 exec, exec, s[0:1]
	v_cmp_gt_u32_e32 vcc, s2, v19
	s_and_saveexec_b64 s[0:1], vcc
	s_cbranch_execnz .LBB18_113
.LBB18_98:
	s_or_b64 exec, exec, s[0:1]
	v_cmp_gt_u32_e32 vcc, s2, v18
	s_and_saveexec_b64 s[0:1], vcc
	s_cbranch_execz .LBB18_100
.LBB18_99:
	s_waitcnt lgkmcnt(2)
	v_add_co_u32_e32 v7, vcc, 0x1000, v1
	v_addc_co_u32_e32 v8, vcc, 0, v2, vcc
	s_waitcnt lgkmcnt(1)
	global_store_dwordx2 v[7:8], v[5:6], off offset:2048
.LBB18_100:
	s_or_b64 exec, exec, s[0:1]
	v_cmp_gt_u32_e64 s[0:1], s2, v17
.LBB18_101:
	s_and_saveexec_b64 s[2:3], s[0:1]
	s_cbranch_execz .LBB18_103
; %bb.102:
	v_add_co_u32_e32 v0, vcc, 0x1000, v1
	v_addc_co_u32_e32 v1, vcc, 0, v2, vcc
	s_waitcnt lgkmcnt(0)
	global_store_dwordx2 v[0:1], v[3:4], off offset:3072
.LBB18_103:
	s_endpgm
.LBB18_104:
	v_subrev_u32_e32 v19, s19, v0
	v_cmp_gt_u32_e32 vcc, s33, v19
                                        ; implicit-def: $vgpr17_vgpr18
	s_and_saveexec_b64 s[26:27], vcc
	s_xor_b64 s[26:27], exec, s[26:27]
; %bb.105:
	v_lshlrev_b32_e32 v17, 3, v19
	v_mov_b32_e32 v18, s7
	v_add_co_u32_e32 v17, vcc, s6, v17
	s_mov_b64 s[4:5], exec
	v_addc_co_u32_e32 v18, vcc, 0, v18, vcc
; %bb.106:
	s_or_b64 exec, exec, s[26:27]
	s_and_b64 s[4:5], s[4:5], exec
	s_andn2_saveexec_b64 s[2:3], s[2:3]
	s_cbranch_execz .LBB18_36
.LBB18_107:
	v_mov_b32_e32 v18, s9
	v_add_co_u32_e32 v17, vcc, s8, v21
	v_addc_co_u32_e32 v18, vcc, 0, v18, vcc
	s_or_b64 s[4:5], s[4:5], exec
	s_or_b64 exec, exec, s[2:3]
	s_and_saveexec_b64 s[2:3], s[4:5]
	s_cbranch_execnz .LBB18_37
	s_branch .LBB18_38
.LBB18_108:
	ds_read_b64 v[25:26], v25
	s_waitcnt lgkmcnt(0)
	global_store_dwordx2 v[1:2], v[25:26], off
	s_or_b64 exec, exec, s[0:1]
	v_cmp_gt_u32_e32 vcc, s2, v24
	s_and_saveexec_b64 s[0:1], vcc
	s_cbranch_execz .LBB18_94
.LBB18_109:
	s_waitcnt lgkmcnt(6)
	global_store_dwordx2 v[1:2], v[15:16], off offset:1024
	s_or_b64 exec, exec, s[0:1]
	v_cmp_gt_u32_e32 vcc, s2, v23
	s_and_saveexec_b64 s[0:1], vcc
	s_cbranch_execz .LBB18_95
.LBB18_110:
	s_waitcnt lgkmcnt(5)
	global_store_dwordx2 v[1:2], v[13:14], off offset:2048
	s_or_b64 exec, exec, s[0:1]
	v_cmp_gt_u32_e32 vcc, s2, v22
	s_and_saveexec_b64 s[0:1], vcc
	s_cbranch_execz .LBB18_96
.LBB18_111:
	s_waitcnt lgkmcnt(4)
	global_store_dwordx2 v[1:2], v[11:12], off offset:3072
	s_or_b64 exec, exec, s[0:1]
	v_cmp_gt_u32_e32 vcc, s2, v20
	s_and_saveexec_b64 s[0:1], vcc
	s_cbranch_execz .LBB18_97
.LBB18_112:
	s_waitcnt lgkmcnt(4)
	v_add_co_u32_e32 v11, vcc, 0x1000, v1
	v_addc_co_u32_e32 v12, vcc, 0, v2, vcc
	s_waitcnt lgkmcnt(3)
	global_store_dwordx2 v[11:12], v[9:10], off
	s_or_b64 exec, exec, s[0:1]
	v_cmp_gt_u32_e32 vcc, s2, v19
	s_and_saveexec_b64 s[0:1], vcc
	s_cbranch_execz .LBB18_98
.LBB18_113:
	s_waitcnt lgkmcnt(3)
	v_add_co_u32_e32 v9, vcc, 0x1000, v1
	v_addc_co_u32_e32 v10, vcc, 0, v2, vcc
	s_waitcnt lgkmcnt(2)
	global_store_dwordx2 v[9:10], v[7:8], off offset:1024
	s_or_b64 exec, exec, s[0:1]
	v_cmp_gt_u32_e32 vcc, s2, v18
	s_and_saveexec_b64 s[0:1], vcc
	s_cbranch_execnz .LBB18_99
	s_branch .LBB18_100
	.section	.rodata,"a",@progbits
	.p2align	6, 0x0
	.amdhsa_kernel _ZN7rocprim17ROCPRIM_304000_NS6detail35device_block_merge_mergepath_kernelINS1_37wrapped_merge_sort_block_merge_configINS0_14default_configEmN2at4cuda3cub6detail10OpaqueTypeILi8EEEEEPmSC_PSA_SD_jNS1_19radix_merge_compareILb0ELb0EmNS0_19identity_decomposerEEEEEvT0_T1_T2_T3_T4_SL_jT5_PKSL_NS1_7vsmem_tE
		.amdhsa_group_segment_fixed_size 8448
		.amdhsa_private_segment_fixed_size 0
		.amdhsa_kernarg_size 320
		.amdhsa_user_sgpr_count 6
		.amdhsa_user_sgpr_private_segment_buffer 1
		.amdhsa_user_sgpr_dispatch_ptr 0
		.amdhsa_user_sgpr_queue_ptr 0
		.amdhsa_user_sgpr_kernarg_segment_ptr 1
		.amdhsa_user_sgpr_dispatch_id 0
		.amdhsa_user_sgpr_flat_scratch_init 0
		.amdhsa_user_sgpr_private_segment_size 0
		.amdhsa_uses_dynamic_stack 0
		.amdhsa_system_sgpr_private_segment_wavefront_offset 0
		.amdhsa_system_sgpr_workgroup_id_x 1
		.amdhsa_system_sgpr_workgroup_id_y 1
		.amdhsa_system_sgpr_workgroup_id_z 1
		.amdhsa_system_sgpr_workgroup_info 0
		.amdhsa_system_vgpr_workitem_id 0
		.amdhsa_next_free_vgpr 49
		.amdhsa_next_free_sgpr 98
		.amdhsa_reserve_vcc 1
		.amdhsa_reserve_flat_scratch 0
		.amdhsa_float_round_mode_32 0
		.amdhsa_float_round_mode_16_64 0
		.amdhsa_float_denorm_mode_32 3
		.amdhsa_float_denorm_mode_16_64 3
		.amdhsa_dx10_clamp 1
		.amdhsa_ieee_mode 1
		.amdhsa_fp16_overflow 0
		.amdhsa_exception_fp_ieee_invalid_op 0
		.amdhsa_exception_fp_denorm_src 0
		.amdhsa_exception_fp_ieee_div_zero 0
		.amdhsa_exception_fp_ieee_overflow 0
		.amdhsa_exception_fp_ieee_underflow 0
		.amdhsa_exception_fp_ieee_inexact 0
		.amdhsa_exception_int_div_zero 0
	.end_amdhsa_kernel
	.section	.text._ZN7rocprim17ROCPRIM_304000_NS6detail35device_block_merge_mergepath_kernelINS1_37wrapped_merge_sort_block_merge_configINS0_14default_configEmN2at4cuda3cub6detail10OpaqueTypeILi8EEEEEPmSC_PSA_SD_jNS1_19radix_merge_compareILb0ELb0EmNS0_19identity_decomposerEEEEEvT0_T1_T2_T3_T4_SL_jT5_PKSL_NS1_7vsmem_tE,"axG",@progbits,_ZN7rocprim17ROCPRIM_304000_NS6detail35device_block_merge_mergepath_kernelINS1_37wrapped_merge_sort_block_merge_configINS0_14default_configEmN2at4cuda3cub6detail10OpaqueTypeILi8EEEEEPmSC_PSA_SD_jNS1_19radix_merge_compareILb0ELb0EmNS0_19identity_decomposerEEEEEvT0_T1_T2_T3_T4_SL_jT5_PKSL_NS1_7vsmem_tE,comdat
.Lfunc_end18:
	.size	_ZN7rocprim17ROCPRIM_304000_NS6detail35device_block_merge_mergepath_kernelINS1_37wrapped_merge_sort_block_merge_configINS0_14default_configEmN2at4cuda3cub6detail10OpaqueTypeILi8EEEEEPmSC_PSA_SD_jNS1_19radix_merge_compareILb0ELb0EmNS0_19identity_decomposerEEEEEvT0_T1_T2_T3_T4_SL_jT5_PKSL_NS1_7vsmem_tE, .Lfunc_end18-_ZN7rocprim17ROCPRIM_304000_NS6detail35device_block_merge_mergepath_kernelINS1_37wrapped_merge_sort_block_merge_configINS0_14default_configEmN2at4cuda3cub6detail10OpaqueTypeILi8EEEEEPmSC_PSA_SD_jNS1_19radix_merge_compareILb0ELb0EmNS0_19identity_decomposerEEEEEvT0_T1_T2_T3_T4_SL_jT5_PKSL_NS1_7vsmem_tE
                                        ; -- End function
	.set _ZN7rocprim17ROCPRIM_304000_NS6detail35device_block_merge_mergepath_kernelINS1_37wrapped_merge_sort_block_merge_configINS0_14default_configEmN2at4cuda3cub6detail10OpaqueTypeILi8EEEEEPmSC_PSA_SD_jNS1_19radix_merge_compareILb0ELb0EmNS0_19identity_decomposerEEEEEvT0_T1_T2_T3_T4_SL_jT5_PKSL_NS1_7vsmem_tE.num_vgpr, 45
	.set _ZN7rocprim17ROCPRIM_304000_NS6detail35device_block_merge_mergepath_kernelINS1_37wrapped_merge_sort_block_merge_configINS0_14default_configEmN2at4cuda3cub6detail10OpaqueTypeILi8EEEEEPmSC_PSA_SD_jNS1_19radix_merge_compareILb0ELb0EmNS0_19identity_decomposerEEEEEvT0_T1_T2_T3_T4_SL_jT5_PKSL_NS1_7vsmem_tE.num_agpr, 0
	.set _ZN7rocprim17ROCPRIM_304000_NS6detail35device_block_merge_mergepath_kernelINS1_37wrapped_merge_sort_block_merge_configINS0_14default_configEmN2at4cuda3cub6detail10OpaqueTypeILi8EEEEEPmSC_PSA_SD_jNS1_19radix_merge_compareILb0ELb0EmNS0_19identity_decomposerEEEEEvT0_T1_T2_T3_T4_SL_jT5_PKSL_NS1_7vsmem_tE.numbered_sgpr, 34
	.set _ZN7rocprim17ROCPRIM_304000_NS6detail35device_block_merge_mergepath_kernelINS1_37wrapped_merge_sort_block_merge_configINS0_14default_configEmN2at4cuda3cub6detail10OpaqueTypeILi8EEEEEPmSC_PSA_SD_jNS1_19radix_merge_compareILb0ELb0EmNS0_19identity_decomposerEEEEEvT0_T1_T2_T3_T4_SL_jT5_PKSL_NS1_7vsmem_tE.num_named_barrier, 0
	.set _ZN7rocprim17ROCPRIM_304000_NS6detail35device_block_merge_mergepath_kernelINS1_37wrapped_merge_sort_block_merge_configINS0_14default_configEmN2at4cuda3cub6detail10OpaqueTypeILi8EEEEEPmSC_PSA_SD_jNS1_19radix_merge_compareILb0ELb0EmNS0_19identity_decomposerEEEEEvT0_T1_T2_T3_T4_SL_jT5_PKSL_NS1_7vsmem_tE.private_seg_size, 0
	.set _ZN7rocprim17ROCPRIM_304000_NS6detail35device_block_merge_mergepath_kernelINS1_37wrapped_merge_sort_block_merge_configINS0_14default_configEmN2at4cuda3cub6detail10OpaqueTypeILi8EEEEEPmSC_PSA_SD_jNS1_19radix_merge_compareILb0ELb0EmNS0_19identity_decomposerEEEEEvT0_T1_T2_T3_T4_SL_jT5_PKSL_NS1_7vsmem_tE.uses_vcc, 1
	.set _ZN7rocprim17ROCPRIM_304000_NS6detail35device_block_merge_mergepath_kernelINS1_37wrapped_merge_sort_block_merge_configINS0_14default_configEmN2at4cuda3cub6detail10OpaqueTypeILi8EEEEEPmSC_PSA_SD_jNS1_19radix_merge_compareILb0ELb0EmNS0_19identity_decomposerEEEEEvT0_T1_T2_T3_T4_SL_jT5_PKSL_NS1_7vsmem_tE.uses_flat_scratch, 0
	.set _ZN7rocprim17ROCPRIM_304000_NS6detail35device_block_merge_mergepath_kernelINS1_37wrapped_merge_sort_block_merge_configINS0_14default_configEmN2at4cuda3cub6detail10OpaqueTypeILi8EEEEEPmSC_PSA_SD_jNS1_19radix_merge_compareILb0ELb0EmNS0_19identity_decomposerEEEEEvT0_T1_T2_T3_T4_SL_jT5_PKSL_NS1_7vsmem_tE.has_dyn_sized_stack, 0
	.set _ZN7rocprim17ROCPRIM_304000_NS6detail35device_block_merge_mergepath_kernelINS1_37wrapped_merge_sort_block_merge_configINS0_14default_configEmN2at4cuda3cub6detail10OpaqueTypeILi8EEEEEPmSC_PSA_SD_jNS1_19radix_merge_compareILb0ELb0EmNS0_19identity_decomposerEEEEEvT0_T1_T2_T3_T4_SL_jT5_PKSL_NS1_7vsmem_tE.has_recursion, 0
	.set _ZN7rocprim17ROCPRIM_304000_NS6detail35device_block_merge_mergepath_kernelINS1_37wrapped_merge_sort_block_merge_configINS0_14default_configEmN2at4cuda3cub6detail10OpaqueTypeILi8EEEEEPmSC_PSA_SD_jNS1_19radix_merge_compareILb0ELb0EmNS0_19identity_decomposerEEEEEvT0_T1_T2_T3_T4_SL_jT5_PKSL_NS1_7vsmem_tE.has_indirect_call, 0
	.section	.AMDGPU.csdata,"",@progbits
; Kernel info:
; codeLenInByte = 6260
; TotalNumSgprs: 38
; NumVgprs: 45
; ScratchSize: 0
; MemoryBound: 1
; FloatMode: 240
; IeeeMode: 1
; LDSByteSize: 8448 bytes/workgroup (compile time only)
; SGPRBlocks: 12
; VGPRBlocks: 12
; NumSGPRsForWavesPerEU: 102
; NumVGPRsForWavesPerEU: 49
; Occupancy: 4
; WaveLimiterHint : 1
; COMPUTE_PGM_RSRC2:SCRATCH_EN: 0
; COMPUTE_PGM_RSRC2:USER_SGPR: 6
; COMPUTE_PGM_RSRC2:TRAP_HANDLER: 0
; COMPUTE_PGM_RSRC2:TGID_X_EN: 1
; COMPUTE_PGM_RSRC2:TGID_Y_EN: 1
; COMPUTE_PGM_RSRC2:TGID_Z_EN: 1
; COMPUTE_PGM_RSRC2:TIDIG_COMP_CNT: 0
	.section	.text._ZN7rocprim17ROCPRIM_304000_NS6detail33device_block_merge_oddeven_kernelINS1_37wrapped_merge_sort_block_merge_configINS0_14default_configEmN2at4cuda3cub6detail10OpaqueTypeILi8EEEEEPmSC_PSA_SD_jNS1_19radix_merge_compareILb0ELb0EmNS0_19identity_decomposerEEEEEvT0_T1_T2_T3_T4_SL_T5_,"axG",@progbits,_ZN7rocprim17ROCPRIM_304000_NS6detail33device_block_merge_oddeven_kernelINS1_37wrapped_merge_sort_block_merge_configINS0_14default_configEmN2at4cuda3cub6detail10OpaqueTypeILi8EEEEEPmSC_PSA_SD_jNS1_19radix_merge_compareILb0ELb0EmNS0_19identity_decomposerEEEEEvT0_T1_T2_T3_T4_SL_T5_,comdat
	.protected	_ZN7rocprim17ROCPRIM_304000_NS6detail33device_block_merge_oddeven_kernelINS1_37wrapped_merge_sort_block_merge_configINS0_14default_configEmN2at4cuda3cub6detail10OpaqueTypeILi8EEEEEPmSC_PSA_SD_jNS1_19radix_merge_compareILb0ELb0EmNS0_19identity_decomposerEEEEEvT0_T1_T2_T3_T4_SL_T5_ ; -- Begin function _ZN7rocprim17ROCPRIM_304000_NS6detail33device_block_merge_oddeven_kernelINS1_37wrapped_merge_sort_block_merge_configINS0_14default_configEmN2at4cuda3cub6detail10OpaqueTypeILi8EEEEEPmSC_PSA_SD_jNS1_19radix_merge_compareILb0ELb0EmNS0_19identity_decomposerEEEEEvT0_T1_T2_T3_T4_SL_T5_
	.globl	_ZN7rocprim17ROCPRIM_304000_NS6detail33device_block_merge_oddeven_kernelINS1_37wrapped_merge_sort_block_merge_configINS0_14default_configEmN2at4cuda3cub6detail10OpaqueTypeILi8EEEEEPmSC_PSA_SD_jNS1_19radix_merge_compareILb0ELb0EmNS0_19identity_decomposerEEEEEvT0_T1_T2_T3_T4_SL_T5_
	.p2align	8
	.type	_ZN7rocprim17ROCPRIM_304000_NS6detail33device_block_merge_oddeven_kernelINS1_37wrapped_merge_sort_block_merge_configINS0_14default_configEmN2at4cuda3cub6detail10OpaqueTypeILi8EEEEEPmSC_PSA_SD_jNS1_19radix_merge_compareILb0ELb0EmNS0_19identity_decomposerEEEEEvT0_T1_T2_T3_T4_SL_T5_,@function
_ZN7rocprim17ROCPRIM_304000_NS6detail33device_block_merge_oddeven_kernelINS1_37wrapped_merge_sort_block_merge_configINS0_14default_configEmN2at4cuda3cub6detail10OpaqueTypeILi8EEEEEPmSC_PSA_SD_jNS1_19radix_merge_compareILb0ELb0EmNS0_19identity_decomposerEEEEEvT0_T1_T2_T3_T4_SL_T5_: ; @_ZN7rocprim17ROCPRIM_304000_NS6detail33device_block_merge_oddeven_kernelINS1_37wrapped_merge_sort_block_merge_configINS0_14default_configEmN2at4cuda3cub6detail10OpaqueTypeILi8EEEEEPmSC_PSA_SD_jNS1_19radix_merge_compareILb0ELb0EmNS0_19identity_decomposerEEEEEvT0_T1_T2_T3_T4_SL_T5_
; %bb.0:
	s_load_dwordx2 s[18:19], s[4:5], 0x20
	s_waitcnt lgkmcnt(0)
	s_lshr_b32 s0, s18, 8
	s_cmp_eq_u32 s6, s0
	s_cselect_b64 s[16:17], -1, 0
	s_cmp_lg_u32 s6, s0
	s_cselect_b64 s[0:1], -1, 0
	s_lshl_b32 s20, s6, 8
	s_sub_i32 s2, s18, s20
	v_cmp_gt_u32_e64 s[2:3], s2, v0
	s_or_b64 s[0:1], s[0:1], s[2:3]
	s_and_saveexec_b64 s[8:9], s[0:1]
	s_cbranch_execz .LBB19_24
; %bb.1:
	s_load_dwordx8 s[8:15], s[4:5], 0x0
	s_mov_b32 s21, 0
	s_lshl_b64 s[0:1], s[20:21], 3
	v_lshlrev_b32_e32 v5, 3, v0
	s_waitcnt lgkmcnt(0)
	s_add_u32 s4, s8, s0
	s_addc_u32 s5, s9, s1
	s_add_u32 s0, s12, s0
	s_addc_u32 s1, s13, s1
	global_load_dwordx2 v[1:2], v5, s[0:1]
	global_load_dwordx2 v[3:4], v5, s[4:5]
	s_lshr_b32 s0, s19, 8
	s_sub_i32 s1, 0, s0
	s_and_b32 s1, s6, s1
	s_and_b32 s0, s1, s0
	s_lshl_b32 s13, s1, 8
	s_sub_i32 s6, 0, s19
	s_cmp_eq_u32 s0, 0
	s_cselect_b64 s[0:1], -1, 0
	s_and_b64 s[4:5], s[0:1], exec
	s_cselect_b32 s6, s19, s6
	s_add_i32 s6, s6, s13
	s_mov_b64 s[4:5], -1
	s_cmp_gt_u32 s18, s6
	v_add_u32_e32 v5, s20, v0
	s_cbranch_scc1 .LBB19_9
; %bb.2:
	s_and_b64 vcc, exec, s[16:17]
	s_cbranch_vccz .LBB19_6
; %bb.3:
	v_cmp_gt_u32_e32 vcc, s18, v5
	s_and_saveexec_b64 s[4:5], vcc
	s_cbranch_execz .LBB19_5
; %bb.4:
	v_mov_b32_e32 v6, 0
	v_lshlrev_b64 v[6:7], 3, v[5:6]
	v_mov_b32_e32 v0, s15
	v_add_co_u32_e32 v8, vcc, s14, v6
	v_addc_co_u32_e32 v9, vcc, v0, v7, vcc
	v_mov_b32_e32 v0, s11
	v_add_co_u32_e32 v6, vcc, s10, v6
	v_addc_co_u32_e32 v7, vcc, v0, v7, vcc
	s_waitcnt vmcnt(0)
	global_store_dwordx2 v[6:7], v[3:4], off
	global_store_dwordx2 v[8:9], v[1:2], off
.LBB19_5:
	s_or_b64 exec, exec, s[4:5]
	s_mov_b64 s[4:5], 0
.LBB19_6:
	s_andn2_b64 vcc, exec, s[4:5]
	s_cbranch_vccnz .LBB19_8
; %bb.7:
	v_mov_b32_e32 v6, 0
	v_lshlrev_b64 v[6:7], 3, v[5:6]
	v_mov_b32_e32 v0, s11
	v_add_co_u32_e32 v8, vcc, s10, v6
	v_addc_co_u32_e32 v9, vcc, v0, v7, vcc
	v_mov_b32_e32 v0, s15
	v_add_co_u32_e32 v6, vcc, s14, v6
	v_addc_co_u32_e32 v7, vcc, v0, v7, vcc
	s_waitcnt vmcnt(0)
	global_store_dwordx2 v[8:9], v[3:4], off
	global_store_dwordx2 v[6:7], v[1:2], off
.LBB19_8:
	s_mov_b64 s[4:5], 0
.LBB19_9:
	s_andn2_b64 vcc, exec, s[4:5]
	s_cbranch_vccnz .LBB19_24
; %bb.10:
	s_min_u32 s7, s6, s18
	s_add_i32 s4, s7, s19
	s_min_u32 s12, s4, s18
	s_min_u32 s4, s13, s7
	s_add_i32 s13, s13, s7
	v_subrev_u32_e32 v0, s13, v5
	v_add_u32_e32 v0, s4, v0
	s_andn2_b64 vcc, exec, s[16:17]
	s_mov_b64 s[4:5], -1
	s_cbranch_vccnz .LBB19_18
; %bb.11:
	s_and_saveexec_b64 s[4:5], s[2:3]
	s_cbranch_execz .LBB19_17
; %bb.12:
	s_cmp_ge_u32 s6, s12
	v_mov_b32_e32 v7, s7
	s_cbranch_scc1 .LBB19_16
; %bb.13:
	s_mov_b64 s[2:3], 0
	v_mov_b32_e32 v8, s12
	v_mov_b32_e32 v7, s7
	;; [unrolled: 1-line block ×4, first 2 shown]
.LBB19_14:                              ; =>This Inner Loop Header: Depth=1
	v_add_u32_e32 v5, v7, v8
	v_lshrrev_b32_e32 v5, 1, v5
	v_lshlrev_b64 v[10:11], 3, v[5:6]
	v_add_u32_e32 v12, 1, v5
	v_add_co_u32_e32 v10, vcc, s8, v10
	v_addc_co_u32_e32 v11, vcc, v9, v11, vcc
	global_load_dwordx2 v[10:11], v[10:11], off
	s_waitcnt vmcnt(0)
	v_cmp_gt_u64_e32 vcc, v[3:4], v[10:11]
	v_cndmask_b32_e64 v13, 0, 1, vcc
	v_cmp_le_u64_e32 vcc, v[10:11], v[3:4]
	v_cndmask_b32_e64 v10, 0, 1, vcc
	v_cndmask_b32_e64 v10, v10, v13, s[0:1]
	v_and_b32_e32 v10, 1, v10
	v_cmp_eq_u32_e32 vcc, 1, v10
	v_cndmask_b32_e32 v8, v5, v8, vcc
	v_cndmask_b32_e32 v7, v7, v12, vcc
	v_cmp_ge_u32_e32 vcc, v7, v8
	s_or_b64 s[2:3], vcc, s[2:3]
	s_andn2_b64 exec, exec, s[2:3]
	s_cbranch_execnz .LBB19_14
; %bb.15:
	s_or_b64 exec, exec, s[2:3]
.LBB19_16:
	v_add_u32_e32 v5, v7, v0
	v_mov_b32_e32 v6, 0
	v_lshlrev_b64 v[5:6], 3, v[5:6]
	v_mov_b32_e32 v8, s11
	v_add_co_u32_e32 v7, vcc, s10, v5
	v_addc_co_u32_e32 v8, vcc, v8, v6, vcc
	s_waitcnt vmcnt(0)
	global_store_dwordx2 v[7:8], v[3:4], off
	v_mov_b32_e32 v7, s15
	v_add_co_u32_e32 v5, vcc, s14, v5
	v_addc_co_u32_e32 v6, vcc, v7, v6, vcc
	global_store_dwordx2 v[5:6], v[1:2], off
.LBB19_17:
	s_or_b64 exec, exec, s[4:5]
	s_mov_b64 s[4:5], 0
.LBB19_18:
	s_andn2_b64 vcc, exec, s[4:5]
	s_cbranch_vccnz .LBB19_24
; %bb.19:
	s_cmp_ge_u32 s6, s12
	v_mov_b32_e32 v7, s7
	s_cbranch_scc1 .LBB19_23
; %bb.20:
	s_mov_b64 s[2:3], 0
	v_mov_b32_e32 v8, s12
	v_mov_b32_e32 v7, s7
	;; [unrolled: 1-line block ×4, first 2 shown]
.LBB19_21:                              ; =>This Inner Loop Header: Depth=1
	v_add_u32_e32 v5, v7, v8
	v_lshrrev_b32_e32 v5, 1, v5
	v_lshlrev_b64 v[10:11], 3, v[5:6]
	v_add_u32_e32 v12, 1, v5
	v_add_co_u32_e32 v10, vcc, s8, v10
	v_addc_co_u32_e32 v11, vcc, v9, v11, vcc
	global_load_dwordx2 v[10:11], v[10:11], off
	s_waitcnt vmcnt(0)
	v_cmp_gt_u64_e32 vcc, v[3:4], v[10:11]
	v_cndmask_b32_e64 v13, 0, 1, vcc
	v_cmp_le_u64_e32 vcc, v[10:11], v[3:4]
	v_cndmask_b32_e64 v10, 0, 1, vcc
	v_cndmask_b32_e64 v10, v10, v13, s[0:1]
	v_and_b32_e32 v10, 1, v10
	v_cmp_eq_u32_e32 vcc, 1, v10
	v_cndmask_b32_e32 v8, v5, v8, vcc
	v_cndmask_b32_e32 v7, v7, v12, vcc
	v_cmp_ge_u32_e32 vcc, v7, v8
	s_or_b64 s[2:3], vcc, s[2:3]
	s_andn2_b64 exec, exec, s[2:3]
	s_cbranch_execnz .LBB19_21
; %bb.22:
	s_or_b64 exec, exec, s[2:3]
.LBB19_23:
	v_add_u32_e32 v5, v7, v0
	v_mov_b32_e32 v6, 0
	v_lshlrev_b64 v[5:6], 3, v[5:6]
	v_mov_b32_e32 v0, s11
	v_add_co_u32_e32 v7, vcc, s10, v5
	v_addc_co_u32_e32 v8, vcc, v0, v6, vcc
	s_waitcnt vmcnt(0)
	global_store_dwordx2 v[7:8], v[3:4], off
	v_mov_b32_e32 v0, s15
	v_add_co_u32_e32 v3, vcc, s14, v5
	v_addc_co_u32_e32 v4, vcc, v0, v6, vcc
	global_store_dwordx2 v[3:4], v[1:2], off
.LBB19_24:
	s_endpgm
	.section	.rodata,"a",@progbits
	.p2align	6, 0x0
	.amdhsa_kernel _ZN7rocprim17ROCPRIM_304000_NS6detail33device_block_merge_oddeven_kernelINS1_37wrapped_merge_sort_block_merge_configINS0_14default_configEmN2at4cuda3cub6detail10OpaqueTypeILi8EEEEEPmSC_PSA_SD_jNS1_19radix_merge_compareILb0ELb0EmNS0_19identity_decomposerEEEEEvT0_T1_T2_T3_T4_SL_T5_
		.amdhsa_group_segment_fixed_size 0
		.amdhsa_private_segment_fixed_size 0
		.amdhsa_kernarg_size 44
		.amdhsa_user_sgpr_count 6
		.amdhsa_user_sgpr_private_segment_buffer 1
		.amdhsa_user_sgpr_dispatch_ptr 0
		.amdhsa_user_sgpr_queue_ptr 0
		.amdhsa_user_sgpr_kernarg_segment_ptr 1
		.amdhsa_user_sgpr_dispatch_id 0
		.amdhsa_user_sgpr_flat_scratch_init 0
		.amdhsa_user_sgpr_private_segment_size 0
		.amdhsa_uses_dynamic_stack 0
		.amdhsa_system_sgpr_private_segment_wavefront_offset 0
		.amdhsa_system_sgpr_workgroup_id_x 1
		.amdhsa_system_sgpr_workgroup_id_y 0
		.amdhsa_system_sgpr_workgroup_id_z 0
		.amdhsa_system_sgpr_workgroup_info 0
		.amdhsa_system_vgpr_workitem_id 0
		.amdhsa_next_free_vgpr 14
		.amdhsa_next_free_sgpr 22
		.amdhsa_reserve_vcc 1
		.amdhsa_reserve_flat_scratch 0
		.amdhsa_float_round_mode_32 0
		.amdhsa_float_round_mode_16_64 0
		.amdhsa_float_denorm_mode_32 3
		.amdhsa_float_denorm_mode_16_64 3
		.amdhsa_dx10_clamp 1
		.amdhsa_ieee_mode 1
		.amdhsa_fp16_overflow 0
		.amdhsa_exception_fp_ieee_invalid_op 0
		.amdhsa_exception_fp_denorm_src 0
		.amdhsa_exception_fp_ieee_div_zero 0
		.amdhsa_exception_fp_ieee_overflow 0
		.amdhsa_exception_fp_ieee_underflow 0
		.amdhsa_exception_fp_ieee_inexact 0
		.amdhsa_exception_int_div_zero 0
	.end_amdhsa_kernel
	.section	.text._ZN7rocprim17ROCPRIM_304000_NS6detail33device_block_merge_oddeven_kernelINS1_37wrapped_merge_sort_block_merge_configINS0_14default_configEmN2at4cuda3cub6detail10OpaqueTypeILi8EEEEEPmSC_PSA_SD_jNS1_19radix_merge_compareILb0ELb0EmNS0_19identity_decomposerEEEEEvT0_T1_T2_T3_T4_SL_T5_,"axG",@progbits,_ZN7rocprim17ROCPRIM_304000_NS6detail33device_block_merge_oddeven_kernelINS1_37wrapped_merge_sort_block_merge_configINS0_14default_configEmN2at4cuda3cub6detail10OpaqueTypeILi8EEEEEPmSC_PSA_SD_jNS1_19radix_merge_compareILb0ELb0EmNS0_19identity_decomposerEEEEEvT0_T1_T2_T3_T4_SL_T5_,comdat
.Lfunc_end19:
	.size	_ZN7rocprim17ROCPRIM_304000_NS6detail33device_block_merge_oddeven_kernelINS1_37wrapped_merge_sort_block_merge_configINS0_14default_configEmN2at4cuda3cub6detail10OpaqueTypeILi8EEEEEPmSC_PSA_SD_jNS1_19radix_merge_compareILb0ELb0EmNS0_19identity_decomposerEEEEEvT0_T1_T2_T3_T4_SL_T5_, .Lfunc_end19-_ZN7rocprim17ROCPRIM_304000_NS6detail33device_block_merge_oddeven_kernelINS1_37wrapped_merge_sort_block_merge_configINS0_14default_configEmN2at4cuda3cub6detail10OpaqueTypeILi8EEEEEPmSC_PSA_SD_jNS1_19radix_merge_compareILb0ELb0EmNS0_19identity_decomposerEEEEEvT0_T1_T2_T3_T4_SL_T5_
                                        ; -- End function
	.set _ZN7rocprim17ROCPRIM_304000_NS6detail33device_block_merge_oddeven_kernelINS1_37wrapped_merge_sort_block_merge_configINS0_14default_configEmN2at4cuda3cub6detail10OpaqueTypeILi8EEEEEPmSC_PSA_SD_jNS1_19radix_merge_compareILb0ELb0EmNS0_19identity_decomposerEEEEEvT0_T1_T2_T3_T4_SL_T5_.num_vgpr, 14
	.set _ZN7rocprim17ROCPRIM_304000_NS6detail33device_block_merge_oddeven_kernelINS1_37wrapped_merge_sort_block_merge_configINS0_14default_configEmN2at4cuda3cub6detail10OpaqueTypeILi8EEEEEPmSC_PSA_SD_jNS1_19radix_merge_compareILb0ELb0EmNS0_19identity_decomposerEEEEEvT0_T1_T2_T3_T4_SL_T5_.num_agpr, 0
	.set _ZN7rocprim17ROCPRIM_304000_NS6detail33device_block_merge_oddeven_kernelINS1_37wrapped_merge_sort_block_merge_configINS0_14default_configEmN2at4cuda3cub6detail10OpaqueTypeILi8EEEEEPmSC_PSA_SD_jNS1_19radix_merge_compareILb0ELb0EmNS0_19identity_decomposerEEEEEvT0_T1_T2_T3_T4_SL_T5_.numbered_sgpr, 22
	.set _ZN7rocprim17ROCPRIM_304000_NS6detail33device_block_merge_oddeven_kernelINS1_37wrapped_merge_sort_block_merge_configINS0_14default_configEmN2at4cuda3cub6detail10OpaqueTypeILi8EEEEEPmSC_PSA_SD_jNS1_19radix_merge_compareILb0ELb0EmNS0_19identity_decomposerEEEEEvT0_T1_T2_T3_T4_SL_T5_.num_named_barrier, 0
	.set _ZN7rocprim17ROCPRIM_304000_NS6detail33device_block_merge_oddeven_kernelINS1_37wrapped_merge_sort_block_merge_configINS0_14default_configEmN2at4cuda3cub6detail10OpaqueTypeILi8EEEEEPmSC_PSA_SD_jNS1_19radix_merge_compareILb0ELb0EmNS0_19identity_decomposerEEEEEvT0_T1_T2_T3_T4_SL_T5_.private_seg_size, 0
	.set _ZN7rocprim17ROCPRIM_304000_NS6detail33device_block_merge_oddeven_kernelINS1_37wrapped_merge_sort_block_merge_configINS0_14default_configEmN2at4cuda3cub6detail10OpaqueTypeILi8EEEEEPmSC_PSA_SD_jNS1_19radix_merge_compareILb0ELb0EmNS0_19identity_decomposerEEEEEvT0_T1_T2_T3_T4_SL_T5_.uses_vcc, 1
	.set _ZN7rocprim17ROCPRIM_304000_NS6detail33device_block_merge_oddeven_kernelINS1_37wrapped_merge_sort_block_merge_configINS0_14default_configEmN2at4cuda3cub6detail10OpaqueTypeILi8EEEEEPmSC_PSA_SD_jNS1_19radix_merge_compareILb0ELb0EmNS0_19identity_decomposerEEEEEvT0_T1_T2_T3_T4_SL_T5_.uses_flat_scratch, 0
	.set _ZN7rocprim17ROCPRIM_304000_NS6detail33device_block_merge_oddeven_kernelINS1_37wrapped_merge_sort_block_merge_configINS0_14default_configEmN2at4cuda3cub6detail10OpaqueTypeILi8EEEEEPmSC_PSA_SD_jNS1_19radix_merge_compareILb0ELb0EmNS0_19identity_decomposerEEEEEvT0_T1_T2_T3_T4_SL_T5_.has_dyn_sized_stack, 0
	.set _ZN7rocprim17ROCPRIM_304000_NS6detail33device_block_merge_oddeven_kernelINS1_37wrapped_merge_sort_block_merge_configINS0_14default_configEmN2at4cuda3cub6detail10OpaqueTypeILi8EEEEEPmSC_PSA_SD_jNS1_19radix_merge_compareILb0ELb0EmNS0_19identity_decomposerEEEEEvT0_T1_T2_T3_T4_SL_T5_.has_recursion, 0
	.set _ZN7rocprim17ROCPRIM_304000_NS6detail33device_block_merge_oddeven_kernelINS1_37wrapped_merge_sort_block_merge_configINS0_14default_configEmN2at4cuda3cub6detail10OpaqueTypeILi8EEEEEPmSC_PSA_SD_jNS1_19radix_merge_compareILb0ELb0EmNS0_19identity_decomposerEEEEEvT0_T1_T2_T3_T4_SL_T5_.has_indirect_call, 0
	.section	.AMDGPU.csdata,"",@progbits
; Kernel info:
; codeLenInByte = 804
; TotalNumSgprs: 26
; NumVgprs: 14
; ScratchSize: 0
; MemoryBound: 0
; FloatMode: 240
; IeeeMode: 1
; LDSByteSize: 0 bytes/workgroup (compile time only)
; SGPRBlocks: 3
; VGPRBlocks: 3
; NumSGPRsForWavesPerEU: 26
; NumVGPRsForWavesPerEU: 14
; Occupancy: 10
; WaveLimiterHint : 0
; COMPUTE_PGM_RSRC2:SCRATCH_EN: 0
; COMPUTE_PGM_RSRC2:USER_SGPR: 6
; COMPUTE_PGM_RSRC2:TRAP_HANDLER: 0
; COMPUTE_PGM_RSRC2:TGID_X_EN: 1
; COMPUTE_PGM_RSRC2:TGID_Y_EN: 0
; COMPUTE_PGM_RSRC2:TGID_Z_EN: 0
; COMPUTE_PGM_RSRC2:TIDIG_COMP_CNT: 0
	.section	.text._ZN7rocprim17ROCPRIM_304000_NS6detail45device_block_merge_mergepath_partition_kernelINS1_37wrapped_merge_sort_block_merge_configINS0_14default_configEmN2at4cuda3cub6detail10OpaqueTypeILi8EEEEEPmjNS1_19radix_merge_compareILb0ELb1EmNS0_19identity_decomposerEEEEEvT0_T1_jPSH_T2_SH_,"axG",@progbits,_ZN7rocprim17ROCPRIM_304000_NS6detail45device_block_merge_mergepath_partition_kernelINS1_37wrapped_merge_sort_block_merge_configINS0_14default_configEmN2at4cuda3cub6detail10OpaqueTypeILi8EEEEEPmjNS1_19radix_merge_compareILb0ELb1EmNS0_19identity_decomposerEEEEEvT0_T1_jPSH_T2_SH_,comdat
	.protected	_ZN7rocprim17ROCPRIM_304000_NS6detail45device_block_merge_mergepath_partition_kernelINS1_37wrapped_merge_sort_block_merge_configINS0_14default_configEmN2at4cuda3cub6detail10OpaqueTypeILi8EEEEEPmjNS1_19radix_merge_compareILb0ELb1EmNS0_19identity_decomposerEEEEEvT0_T1_jPSH_T2_SH_ ; -- Begin function _ZN7rocprim17ROCPRIM_304000_NS6detail45device_block_merge_mergepath_partition_kernelINS1_37wrapped_merge_sort_block_merge_configINS0_14default_configEmN2at4cuda3cub6detail10OpaqueTypeILi8EEEEEPmjNS1_19radix_merge_compareILb0ELb1EmNS0_19identity_decomposerEEEEEvT0_T1_jPSH_T2_SH_
	.globl	_ZN7rocprim17ROCPRIM_304000_NS6detail45device_block_merge_mergepath_partition_kernelINS1_37wrapped_merge_sort_block_merge_configINS0_14default_configEmN2at4cuda3cub6detail10OpaqueTypeILi8EEEEEPmjNS1_19radix_merge_compareILb0ELb1EmNS0_19identity_decomposerEEEEEvT0_T1_jPSH_T2_SH_
	.p2align	8
	.type	_ZN7rocprim17ROCPRIM_304000_NS6detail45device_block_merge_mergepath_partition_kernelINS1_37wrapped_merge_sort_block_merge_configINS0_14default_configEmN2at4cuda3cub6detail10OpaqueTypeILi8EEEEEPmjNS1_19radix_merge_compareILb0ELb1EmNS0_19identity_decomposerEEEEEvT0_T1_jPSH_T2_SH_,@function
_ZN7rocprim17ROCPRIM_304000_NS6detail45device_block_merge_mergepath_partition_kernelINS1_37wrapped_merge_sort_block_merge_configINS0_14default_configEmN2at4cuda3cub6detail10OpaqueTypeILi8EEEEEPmjNS1_19radix_merge_compareILb0ELb1EmNS0_19identity_decomposerEEEEEvT0_T1_jPSH_T2_SH_: ; @_ZN7rocprim17ROCPRIM_304000_NS6detail45device_block_merge_mergepath_partition_kernelINS1_37wrapped_merge_sort_block_merge_configINS0_14default_configEmN2at4cuda3cub6detail10OpaqueTypeILi8EEEEEPmjNS1_19radix_merge_compareILb0ELb1EmNS0_19identity_decomposerEEEEEvT0_T1_jPSH_T2_SH_
; %bb.0:
	s_load_dwordx2 s[8:9], s[4:5], 0x8
	v_lshl_or_b32 v0, s6, 7, v0
	s_waitcnt lgkmcnt(0)
	v_cmp_gt_u32_e32 vcc, s9, v0
	s_and_saveexec_b64 s[0:1], vcc
	s_cbranch_execz .LBB20_6
; %bb.1:
	s_load_dword s6, s[4:5], 0x20
	s_load_dwordx4 s[0:3], s[4:5], 0x10
	s_waitcnt lgkmcnt(0)
	s_lshr_b32 s7, s6, 9
	s_and_b32 s7, s7, 0x7ffffe
	s_add_i32 s9, s7, -1
	s_sub_i32 s7, 0, s7
	v_and_b32_e32 v1, s7, v0
	v_lshlrev_b32_e32 v3, 10, v1
	v_min_u32_e32 v1, s8, v3
	v_add_u32_e32 v3, s6, v3
	v_min_u32_e32 v3, s8, v3
	v_add_u32_e32 v4, s6, v3
	v_and_b32_e32 v2, s9, v0
	v_min_u32_e32 v4, s8, v4
	v_sub_u32_e32 v5, v4, v1
	v_lshlrev_b32_e32 v2, 10, v2
	v_min_u32_e32 v6, v5, v2
	v_sub_u32_e32 v2, v3, v1
	v_sub_u32_e32 v4, v4, v3
	v_sub_u32_e64 v5, v6, v4 clamp
	v_min_u32_e32 v7, v6, v2
	v_cmp_lt_u32_e32 vcc, v5, v7
	s_and_saveexec_b64 s[6:7], vcc
	s_cbranch_execz .LBB20_5
; %bb.2:
	s_load_dwordx2 s[4:5], s[4:5], 0x0
	v_mov_b32_e32 v4, 0
	v_mov_b32_e32 v2, v4
	v_lshlrev_b64 v[8:9], 3, v[1:2]
	s_waitcnt lgkmcnt(0)
	v_mov_b32_e32 v11, s5
	v_add_co_u32_e32 v2, vcc, s4, v8
	v_addc_co_u32_e32 v8, vcc, v11, v9, vcc
	v_lshlrev_b64 v[9:10], 3, v[3:4]
	v_add_co_u32_e32 v9, vcc, s4, v9
	v_addc_co_u32_e32 v10, vcc, v11, v10, vcc
	s_mov_b64 s[4:5], 0
.LBB20_3:                               ; =>This Inner Loop Header: Depth=1
	v_add_u32_e32 v3, v7, v5
	v_lshrrev_b32_e32 v3, 1, v3
	v_lshlrev_b64 v[13:14], 3, v[3:4]
	v_mov_b32_e32 v12, v4
	v_xad_u32 v11, v3, -1, v6
	v_lshlrev_b64 v[11:12], 3, v[11:12]
	v_add_co_u32_e32 v13, vcc, v2, v13
	v_addc_co_u32_e32 v14, vcc, v8, v14, vcc
	v_add_co_u32_e32 v11, vcc, v9, v11
	v_addc_co_u32_e32 v12, vcc, v10, v12, vcc
	global_load_dwordx2 v[13:14], v[13:14], off
	v_add_u32_e32 v15, 1, v3
	global_load_dwordx2 v[11:12], v[11:12], off
	s_waitcnt vmcnt(1)
	v_and_b32_e32 v14, s3, v14
	v_and_b32_e32 v13, s2, v13
	s_waitcnt vmcnt(0)
	v_and_b32_e32 v12, s3, v12
	v_and_b32_e32 v11, s2, v11
	v_cmp_gt_u64_e32 vcc, v[13:14], v[11:12]
	v_cndmask_b32_e32 v7, v7, v3, vcc
	v_cndmask_b32_e32 v5, v15, v5, vcc
	v_cmp_ge_u32_e32 vcc, v5, v7
	s_or_b64 s[4:5], vcc, s[4:5]
	s_andn2_b64 exec, exec, s[4:5]
	s_cbranch_execnz .LBB20_3
; %bb.4:
	s_or_b64 exec, exec, s[4:5]
.LBB20_5:
	s_or_b64 exec, exec, s[6:7]
	v_add_u32_e32 v2, v5, v1
	v_mov_b32_e32 v1, 0
	v_lshlrev_b64 v[0:1], 2, v[0:1]
	v_mov_b32_e32 v3, s1
	v_add_co_u32_e32 v0, vcc, s0, v0
	v_addc_co_u32_e32 v1, vcc, v3, v1, vcc
	global_store_dword v[0:1], v2, off
.LBB20_6:
	s_endpgm
	.section	.rodata,"a",@progbits
	.p2align	6, 0x0
	.amdhsa_kernel _ZN7rocprim17ROCPRIM_304000_NS6detail45device_block_merge_mergepath_partition_kernelINS1_37wrapped_merge_sort_block_merge_configINS0_14default_configEmN2at4cuda3cub6detail10OpaqueTypeILi8EEEEEPmjNS1_19radix_merge_compareILb0ELb1EmNS0_19identity_decomposerEEEEEvT0_T1_jPSH_T2_SH_
		.amdhsa_group_segment_fixed_size 0
		.amdhsa_private_segment_fixed_size 0
		.amdhsa_kernarg_size 36
		.amdhsa_user_sgpr_count 6
		.amdhsa_user_sgpr_private_segment_buffer 1
		.amdhsa_user_sgpr_dispatch_ptr 0
		.amdhsa_user_sgpr_queue_ptr 0
		.amdhsa_user_sgpr_kernarg_segment_ptr 1
		.amdhsa_user_sgpr_dispatch_id 0
		.amdhsa_user_sgpr_flat_scratch_init 0
		.amdhsa_user_sgpr_private_segment_size 0
		.amdhsa_uses_dynamic_stack 0
		.amdhsa_system_sgpr_private_segment_wavefront_offset 0
		.amdhsa_system_sgpr_workgroup_id_x 1
		.amdhsa_system_sgpr_workgroup_id_y 0
		.amdhsa_system_sgpr_workgroup_id_z 0
		.amdhsa_system_sgpr_workgroup_info 0
		.amdhsa_system_vgpr_workitem_id 0
		.amdhsa_next_free_vgpr 16
		.amdhsa_next_free_sgpr 10
		.amdhsa_reserve_vcc 1
		.amdhsa_reserve_flat_scratch 0
		.amdhsa_float_round_mode_32 0
		.amdhsa_float_round_mode_16_64 0
		.amdhsa_float_denorm_mode_32 3
		.amdhsa_float_denorm_mode_16_64 3
		.amdhsa_dx10_clamp 1
		.amdhsa_ieee_mode 1
		.amdhsa_fp16_overflow 0
		.amdhsa_exception_fp_ieee_invalid_op 0
		.amdhsa_exception_fp_denorm_src 0
		.amdhsa_exception_fp_ieee_div_zero 0
		.amdhsa_exception_fp_ieee_overflow 0
		.amdhsa_exception_fp_ieee_underflow 0
		.amdhsa_exception_fp_ieee_inexact 0
		.amdhsa_exception_int_div_zero 0
	.end_amdhsa_kernel
	.section	.text._ZN7rocprim17ROCPRIM_304000_NS6detail45device_block_merge_mergepath_partition_kernelINS1_37wrapped_merge_sort_block_merge_configINS0_14default_configEmN2at4cuda3cub6detail10OpaqueTypeILi8EEEEEPmjNS1_19radix_merge_compareILb0ELb1EmNS0_19identity_decomposerEEEEEvT0_T1_jPSH_T2_SH_,"axG",@progbits,_ZN7rocprim17ROCPRIM_304000_NS6detail45device_block_merge_mergepath_partition_kernelINS1_37wrapped_merge_sort_block_merge_configINS0_14default_configEmN2at4cuda3cub6detail10OpaqueTypeILi8EEEEEPmjNS1_19radix_merge_compareILb0ELb1EmNS0_19identity_decomposerEEEEEvT0_T1_jPSH_T2_SH_,comdat
.Lfunc_end20:
	.size	_ZN7rocprim17ROCPRIM_304000_NS6detail45device_block_merge_mergepath_partition_kernelINS1_37wrapped_merge_sort_block_merge_configINS0_14default_configEmN2at4cuda3cub6detail10OpaqueTypeILi8EEEEEPmjNS1_19radix_merge_compareILb0ELb1EmNS0_19identity_decomposerEEEEEvT0_T1_jPSH_T2_SH_, .Lfunc_end20-_ZN7rocprim17ROCPRIM_304000_NS6detail45device_block_merge_mergepath_partition_kernelINS1_37wrapped_merge_sort_block_merge_configINS0_14default_configEmN2at4cuda3cub6detail10OpaqueTypeILi8EEEEEPmjNS1_19radix_merge_compareILb0ELb1EmNS0_19identity_decomposerEEEEEvT0_T1_jPSH_T2_SH_
                                        ; -- End function
	.set _ZN7rocprim17ROCPRIM_304000_NS6detail45device_block_merge_mergepath_partition_kernelINS1_37wrapped_merge_sort_block_merge_configINS0_14default_configEmN2at4cuda3cub6detail10OpaqueTypeILi8EEEEEPmjNS1_19radix_merge_compareILb0ELb1EmNS0_19identity_decomposerEEEEEvT0_T1_jPSH_T2_SH_.num_vgpr, 16
	.set _ZN7rocprim17ROCPRIM_304000_NS6detail45device_block_merge_mergepath_partition_kernelINS1_37wrapped_merge_sort_block_merge_configINS0_14default_configEmN2at4cuda3cub6detail10OpaqueTypeILi8EEEEEPmjNS1_19radix_merge_compareILb0ELb1EmNS0_19identity_decomposerEEEEEvT0_T1_jPSH_T2_SH_.num_agpr, 0
	.set _ZN7rocprim17ROCPRIM_304000_NS6detail45device_block_merge_mergepath_partition_kernelINS1_37wrapped_merge_sort_block_merge_configINS0_14default_configEmN2at4cuda3cub6detail10OpaqueTypeILi8EEEEEPmjNS1_19radix_merge_compareILb0ELb1EmNS0_19identity_decomposerEEEEEvT0_T1_jPSH_T2_SH_.numbered_sgpr, 10
	.set _ZN7rocprim17ROCPRIM_304000_NS6detail45device_block_merge_mergepath_partition_kernelINS1_37wrapped_merge_sort_block_merge_configINS0_14default_configEmN2at4cuda3cub6detail10OpaqueTypeILi8EEEEEPmjNS1_19radix_merge_compareILb0ELb1EmNS0_19identity_decomposerEEEEEvT0_T1_jPSH_T2_SH_.num_named_barrier, 0
	.set _ZN7rocprim17ROCPRIM_304000_NS6detail45device_block_merge_mergepath_partition_kernelINS1_37wrapped_merge_sort_block_merge_configINS0_14default_configEmN2at4cuda3cub6detail10OpaqueTypeILi8EEEEEPmjNS1_19radix_merge_compareILb0ELb1EmNS0_19identity_decomposerEEEEEvT0_T1_jPSH_T2_SH_.private_seg_size, 0
	.set _ZN7rocprim17ROCPRIM_304000_NS6detail45device_block_merge_mergepath_partition_kernelINS1_37wrapped_merge_sort_block_merge_configINS0_14default_configEmN2at4cuda3cub6detail10OpaqueTypeILi8EEEEEPmjNS1_19radix_merge_compareILb0ELb1EmNS0_19identity_decomposerEEEEEvT0_T1_jPSH_T2_SH_.uses_vcc, 1
	.set _ZN7rocprim17ROCPRIM_304000_NS6detail45device_block_merge_mergepath_partition_kernelINS1_37wrapped_merge_sort_block_merge_configINS0_14default_configEmN2at4cuda3cub6detail10OpaqueTypeILi8EEEEEPmjNS1_19radix_merge_compareILb0ELb1EmNS0_19identity_decomposerEEEEEvT0_T1_jPSH_T2_SH_.uses_flat_scratch, 0
	.set _ZN7rocprim17ROCPRIM_304000_NS6detail45device_block_merge_mergepath_partition_kernelINS1_37wrapped_merge_sort_block_merge_configINS0_14default_configEmN2at4cuda3cub6detail10OpaqueTypeILi8EEEEEPmjNS1_19radix_merge_compareILb0ELb1EmNS0_19identity_decomposerEEEEEvT0_T1_jPSH_T2_SH_.has_dyn_sized_stack, 0
	.set _ZN7rocprim17ROCPRIM_304000_NS6detail45device_block_merge_mergepath_partition_kernelINS1_37wrapped_merge_sort_block_merge_configINS0_14default_configEmN2at4cuda3cub6detail10OpaqueTypeILi8EEEEEPmjNS1_19radix_merge_compareILb0ELb1EmNS0_19identity_decomposerEEEEEvT0_T1_jPSH_T2_SH_.has_recursion, 0
	.set _ZN7rocprim17ROCPRIM_304000_NS6detail45device_block_merge_mergepath_partition_kernelINS1_37wrapped_merge_sort_block_merge_configINS0_14default_configEmN2at4cuda3cub6detail10OpaqueTypeILi8EEEEEPmjNS1_19radix_merge_compareILb0ELb1EmNS0_19identity_decomposerEEEEEvT0_T1_jPSH_T2_SH_.has_indirect_call, 0
	.section	.AMDGPU.csdata,"",@progbits
; Kernel info:
; codeLenInByte = 380
; TotalNumSgprs: 14
; NumVgprs: 16
; ScratchSize: 0
; MemoryBound: 0
; FloatMode: 240
; IeeeMode: 1
; LDSByteSize: 0 bytes/workgroup (compile time only)
; SGPRBlocks: 1
; VGPRBlocks: 3
; NumSGPRsForWavesPerEU: 14
; NumVGPRsForWavesPerEU: 16
; Occupancy: 10
; WaveLimiterHint : 0
; COMPUTE_PGM_RSRC2:SCRATCH_EN: 0
; COMPUTE_PGM_RSRC2:USER_SGPR: 6
; COMPUTE_PGM_RSRC2:TRAP_HANDLER: 0
; COMPUTE_PGM_RSRC2:TGID_X_EN: 1
; COMPUTE_PGM_RSRC2:TGID_Y_EN: 0
; COMPUTE_PGM_RSRC2:TGID_Z_EN: 0
; COMPUTE_PGM_RSRC2:TIDIG_COMP_CNT: 0
	.section	.text._ZN7rocprim17ROCPRIM_304000_NS6detail35device_block_merge_mergepath_kernelINS1_37wrapped_merge_sort_block_merge_configINS0_14default_configEmN2at4cuda3cub6detail10OpaqueTypeILi8EEEEEPmSC_PSA_SD_jNS1_19radix_merge_compareILb0ELb1EmNS0_19identity_decomposerEEEEEvT0_T1_T2_T3_T4_SL_jT5_PKSL_NS1_7vsmem_tE,"axG",@progbits,_ZN7rocprim17ROCPRIM_304000_NS6detail35device_block_merge_mergepath_kernelINS1_37wrapped_merge_sort_block_merge_configINS0_14default_configEmN2at4cuda3cub6detail10OpaqueTypeILi8EEEEEPmSC_PSA_SD_jNS1_19radix_merge_compareILb0ELb1EmNS0_19identity_decomposerEEEEEvT0_T1_T2_T3_T4_SL_jT5_PKSL_NS1_7vsmem_tE,comdat
	.protected	_ZN7rocprim17ROCPRIM_304000_NS6detail35device_block_merge_mergepath_kernelINS1_37wrapped_merge_sort_block_merge_configINS0_14default_configEmN2at4cuda3cub6detail10OpaqueTypeILi8EEEEEPmSC_PSA_SD_jNS1_19radix_merge_compareILb0ELb1EmNS0_19identity_decomposerEEEEEvT0_T1_T2_T3_T4_SL_jT5_PKSL_NS1_7vsmem_tE ; -- Begin function _ZN7rocprim17ROCPRIM_304000_NS6detail35device_block_merge_mergepath_kernelINS1_37wrapped_merge_sort_block_merge_configINS0_14default_configEmN2at4cuda3cub6detail10OpaqueTypeILi8EEEEEPmSC_PSA_SD_jNS1_19radix_merge_compareILb0ELb1EmNS0_19identity_decomposerEEEEEvT0_T1_T2_T3_T4_SL_jT5_PKSL_NS1_7vsmem_tE
	.globl	_ZN7rocprim17ROCPRIM_304000_NS6detail35device_block_merge_mergepath_kernelINS1_37wrapped_merge_sort_block_merge_configINS0_14default_configEmN2at4cuda3cub6detail10OpaqueTypeILi8EEEEEPmSC_PSA_SD_jNS1_19radix_merge_compareILb0ELb1EmNS0_19identity_decomposerEEEEEvT0_T1_T2_T3_T4_SL_jT5_PKSL_NS1_7vsmem_tE
	.p2align	8
	.type	_ZN7rocprim17ROCPRIM_304000_NS6detail35device_block_merge_mergepath_kernelINS1_37wrapped_merge_sort_block_merge_configINS0_14default_configEmN2at4cuda3cub6detail10OpaqueTypeILi8EEEEEPmSC_PSA_SD_jNS1_19radix_merge_compareILb0ELb1EmNS0_19identity_decomposerEEEEEvT0_T1_T2_T3_T4_SL_jT5_PKSL_NS1_7vsmem_tE,@function
_ZN7rocprim17ROCPRIM_304000_NS6detail35device_block_merge_mergepath_kernelINS1_37wrapped_merge_sort_block_merge_configINS0_14default_configEmN2at4cuda3cub6detail10OpaqueTypeILi8EEEEEPmSC_PSA_SD_jNS1_19radix_merge_compareILb0ELb1EmNS0_19identity_decomposerEEEEEvT0_T1_T2_T3_T4_SL_jT5_PKSL_NS1_7vsmem_tE: ; @_ZN7rocprim17ROCPRIM_304000_NS6detail35device_block_merge_mergepath_kernelINS1_37wrapped_merge_sort_block_merge_configINS0_14default_configEmN2at4cuda3cub6detail10OpaqueTypeILi8EEEEEPmSC_PSA_SD_jNS1_19radix_merge_compareILb0ELb1EmNS0_19identity_decomposerEEEEEvT0_T1_T2_T3_T4_SL_jT5_PKSL_NS1_7vsmem_tE
; %bb.0:
	s_load_dwordx2 s[34:35], s[4:5], 0x48
	s_load_dwordx4 s[16:19], s[4:5], 0x20
	s_add_u32 s2, s4, 0x48
	s_addc_u32 s3, s5, 0
	s_waitcnt lgkmcnt(0)
	s_mul_i32 s0, s35, s8
	s_add_i32 s0, s0, s7
	s_mul_i32 s0, s0, s34
	s_add_i32 s0, s0, s6
	s_cmp_ge_u32 s0, s18
	s_cbranch_scc1 .LBB21_103
; %bb.1:
	s_load_dwordx8 s[8:15], s[4:5], 0x0
	s_load_dwordx4 s[20:23], s[4:5], 0x30
	s_lshr_b32 s35, s16, 10
	s_cmp_lg_u32 s0, s35
	s_mov_b32 s1, 0
	s_cselect_b64 s[24:25], -1, 0
	s_lshl_b64 s[4:5], s[0:1], 2
	s_waitcnt lgkmcnt(0)
	s_add_u32 s4, s22, s4
	s_addc_u32 s5, s23, s5
	s_load_dwordx2 s[22:23], s[4:5], 0x0
	s_lshr_b32 s4, s17, 9
	s_and_b32 s4, s4, 0x7ffffe
	s_sub_i32 s4, 0, s4
	s_and_b32 s5, s0, s4
	s_lshl_b32 s7, s5, 10
	s_lshl_b32 s18, s0, 10
	;; [unrolled: 1-line block ×3, first 2 shown]
	s_sub_i32 s19, s18, s7
	s_add_i32 s5, s5, s17
	s_add_i32 s19, s5, s19
	s_waitcnt lgkmcnt(0)
	s_sub_i32 s26, s19, s22
	s_sub_i32 s19, s19, s23
	;; [unrolled: 1-line block ×3, first 2 shown]
	s_min_u32 s26, s16, s26
	s_addk_i32 s19, 0x400
	s_or_b32 s4, s0, s4
	s_min_u32 s7, s16, s5
	s_add_i32 s5, s5, s17
	s_cmp_eq_u32 s4, -1
	s_cselect_b32 s4, s5, s19
	s_cselect_b32 s5, s7, s23
	s_min_u32 s4, s4, s16
	s_mov_b32 s23, s1
	s_sub_i32 s19, s5, s22
	s_sub_i32 s33, s4, s26
	s_lshl_b64 s[28:29], s[22:23], 3
	s_add_u32 s5, s8, s28
	s_mov_b32 s27, s1
	s_addc_u32 s7, s9, s29
	s_lshl_b64 s[30:31], s[26:27], 3
	s_add_u32 s4, s8, s30
	v_mov_b32_e32 v19, 0
	global_load_dword v1, v19, s[2:3] offset:14
	s_addc_u32 s8, s9, s31
	s_cmp_lt_u32 s6, s34
	s_cselect_b32 s1, 12, 18
	s_add_u32 s2, s2, s1
	s_addc_u32 s3, s3, 0
	global_load_ushort v2, v19, s[2:3]
	s_cmp_eq_u32 s0, s35
	v_cmp_gt_u32_e32 vcc, s19, v0
	v_lshlrev_b32_e32 v21, 3, v0
	s_waitcnt vmcnt(1)
	v_lshrrev_b32_e32 v3, 16, v1
	v_and_b32_e32 v1, 0xffff, v1
	v_mul_lo_u32 v1, v1, v3
	s_waitcnt vmcnt(0)
	v_mul_lo_u32 v20, v1, v2
	v_add_u32_e32 v18, v20, v0
	s_cbranch_scc1 .LBB21_3
; %bb.2:
	v_mov_b32_e32 v1, s7
	v_add_co_u32_e64 v3, s[0:1], s5, v21
	v_subrev_u32_e32 v2, s19, v0
	v_addc_co_u32_e64 v1, s[0:1], 0, v1, s[0:1]
	v_lshlrev_b32_e32 v2, 3, v2
	v_mov_b32_e32 v4, s8
	v_add_co_u32_e64 v5, s[0:1], s4, v2
	v_addc_co_u32_e64 v2, s[0:1], 0, v4, s[0:1]
	v_cndmask_b32_e32 v2, v2, v1, vcc
	v_cndmask_b32_e32 v1, v5, v3, vcc
	v_lshlrev_b64 v[3:4], 3, v[18:19]
	v_mov_b32_e32 v5, s7
	v_add_co_u32_e32 v6, vcc, s5, v3
	v_addc_co_u32_e32 v5, vcc, v5, v4, vcc
	v_subrev_co_u32_e32 v3, vcc, s19, v18
	v_mov_b32_e32 v4, v19
	v_lshlrev_b64 v[3:4], 3, v[3:4]
	v_mov_b32_e32 v7, s8
	v_add_co_u32_e64 v3, s[0:1], s4, v3
	v_addc_co_u32_e64 v4, s[0:1], v7, v4, s[0:1]
	v_add_u32_e32 v7, v18, v20
	v_mov_b32_e32 v8, v19
	v_cndmask_b32_e32 v4, v4, v5, vcc
	v_cndmask_b32_e32 v3, v3, v6, vcc
	v_lshlrev_b64 v[5:6], 3, v[7:8]
	v_mov_b32_e32 v8, s7
	v_add_co_u32_e32 v9, vcc, s5, v5
	v_addc_co_u32_e32 v8, vcc, v8, v6, vcc
	v_subrev_co_u32_e32 v5, vcc, s19, v7
	v_mov_b32_e32 v6, v19
	v_lshlrev_b64 v[5:6], 3, v[5:6]
	v_mov_b32_e32 v10, s8
	v_add_co_u32_e64 v5, s[0:1], s4, v5
	v_addc_co_u32_e64 v6, s[0:1], v10, v6, s[0:1]
	v_cndmask_b32_e32 v5, v5, v9, vcc
	v_add_u32_e32 v9, v7, v20
	v_mov_b32_e32 v10, v19
	v_cndmask_b32_e32 v6, v6, v8, vcc
	v_lshlrev_b64 v[7:8], 3, v[9:10]
	v_mov_b32_e32 v10, s7
	v_add_co_u32_e32 v11, vcc, s5, v7
	v_addc_co_u32_e32 v10, vcc, v10, v8, vcc
	v_subrev_co_u32_e32 v7, vcc, s19, v9
	v_mov_b32_e32 v8, v19
	v_lshlrev_b64 v[7:8], 3, v[7:8]
	v_mov_b32_e32 v12, s8
	v_add_co_u32_e64 v7, s[0:1], s4, v7
	v_addc_co_u32_e64 v8, s[0:1], v12, v8, s[0:1]
	v_cndmask_b32_e32 v7, v7, v11, vcc
	v_add_u32_e32 v11, v9, v20
	v_mov_b32_e32 v12, v19
	;; [unrolled: 14-line block ×5, first 2 shown]
	v_cndmask_b32_e32 v13, v13, v17, vcc
	v_lshlrev_b64 v[16:17], 3, v[15:16]
	v_mov_b32_e32 v22, s7
	v_add_co_u32_e32 v23, vcc, s5, v16
	v_addc_co_u32_e32 v17, vcc, v22, v17, vcc
	v_subrev_co_u32_e32 v15, vcc, s19, v15
	v_mov_b32_e32 v16, v19
	v_lshlrev_b64 v[15:16], 3, v[15:16]
	v_mov_b32_e32 v19, s8
	v_add_co_u32_e64 v15, s[0:1], s4, v15
	v_addc_co_u32_e64 v16, s[0:1], v19, v16, s[0:1]
	v_cndmask_b32_e32 v16, v16, v17, vcc
	v_cndmask_b32_e32 v15, v15, v23, vcc
	global_load_dwordx2 v[1:2], v[1:2], off
	s_add_i32 s17, s33, s19
	global_load_dwordx2 v[3:4], v[3:4], off
	s_nop 0
	global_load_dwordx2 v[5:6], v[5:6], off
	s_nop 0
	;; [unrolled: 2-line block ×6, first 2 shown]
	global_load_dwordx2 v[15:16], v[15:16], off
	s_cbranch_execz .LBB21_4
	s_branch .LBB21_21
.LBB21_3:
                                        ; implicit-def: $vgpr1_vgpr2_vgpr3_vgpr4_vgpr5_vgpr6_vgpr7_vgpr8_vgpr9_vgpr10_vgpr11_vgpr12_vgpr13_vgpr14_vgpr15_vgpr16
                                        ; implicit-def: $sgpr17
.LBB21_4:
	s_add_i32 s17, s33, s19
	s_waitcnt vmcnt(7)
	v_mov_b32_e32 v1, 0
	v_cmp_gt_u32_e32 vcc, s17, v0
	v_mov_b32_e32 v2, v1
	s_waitcnt vmcnt(6)
	v_mov_b32_e32 v3, v1
	v_mov_b32_e32 v4, v1
	s_waitcnt vmcnt(5)
	v_mov_b32_e32 v5, v1
	;; [unrolled: 3-line block ×7, first 2 shown]
	v_mov_b32_e32 v16, v1
	s_and_saveexec_b64 s[0:1], vcc
	s_cbranch_execz .LBB21_6
; %bb.5:
	v_mov_b32_e32 v2, s7
	v_add_co_u32_e32 v4, vcc, s5, v21
	v_subrev_u32_e32 v3, s19, v0
	v_addc_co_u32_e32 v2, vcc, 0, v2, vcc
	v_lshlrev_b32_e32 v3, 3, v3
	v_mov_b32_e32 v5, s8
	v_add_co_u32_e32 v6, vcc, s4, v3
	v_addc_co_u32_e32 v3, vcc, 0, v5, vcc
	v_cmp_gt_u32_e32 vcc, s19, v0
	v_cndmask_b32_e32 v3, v3, v2, vcc
	v_cndmask_b32_e32 v2, v6, v4, vcc
	global_load_dwordx2 v[2:3], v[2:3], off
	v_mov_b32_e32 v4, v1
	v_mov_b32_e32 v5, v1
	;; [unrolled: 1-line block ×14, first 2 shown]
	s_waitcnt vmcnt(0)
	v_mov_b32_e32 v1, v2
	v_mov_b32_e32 v2, v3
	;; [unrolled: 1-line block ×16, first 2 shown]
.LBB21_6:
	s_or_b64 exec, exec, s[0:1]
	v_cmp_gt_u32_e32 vcc, s17, v18
	s_and_saveexec_b64 s[2:3], vcc
	s_cbranch_execz .LBB21_8
; %bb.7:
	v_mov_b32_e32 v19, 0
	v_lshlrev_b64 v[3:4], 3, v[18:19]
	v_mov_b32_e32 v17, s7
	v_add_co_u32_e32 v22, vcc, s5, v3
	v_addc_co_u32_e32 v17, vcc, v17, v4, vcc
	v_subrev_co_u32_e32 v3, vcc, s19, v18
	v_mov_b32_e32 v4, v19
	v_lshlrev_b64 v[3:4], 3, v[3:4]
	v_mov_b32_e32 v19, s8
	v_add_co_u32_e64 v3, s[0:1], s4, v3
	v_addc_co_u32_e64 v4, s[0:1], v19, v4, s[0:1]
	v_cndmask_b32_e32 v4, v4, v17, vcc
	v_cndmask_b32_e32 v3, v3, v22, vcc
	global_load_dwordx2 v[3:4], v[3:4], off
.LBB21_8:
	s_or_b64 exec, exec, s[2:3]
	v_add_u32_e32 v17, v18, v20
	v_cmp_gt_u32_e32 vcc, s17, v17
	s_and_saveexec_b64 s[2:3], vcc
	s_cbranch_execz .LBB21_10
; %bb.9:
	v_mov_b32_e32 v18, 0
	v_lshlrev_b64 v[5:6], 3, v[17:18]
	v_mov_b32_e32 v19, s7
	v_add_co_u32_e32 v22, vcc, s5, v5
	v_addc_co_u32_e32 v19, vcc, v19, v6, vcc
	v_subrev_co_u32_e32 v5, vcc, s19, v17
	v_mov_b32_e32 v6, v18
	v_lshlrev_b64 v[5:6], 3, v[5:6]
	v_mov_b32_e32 v18, s8
	v_add_co_u32_e64 v5, s[0:1], s4, v5
	v_addc_co_u32_e64 v6, s[0:1], v18, v6, s[0:1]
	v_cndmask_b32_e32 v6, v6, v19, vcc
	v_cndmask_b32_e32 v5, v5, v22, vcc
	global_load_dwordx2 v[5:6], v[5:6], off
.LBB21_10:
	s_or_b64 exec, exec, s[2:3]
	v_add_u32_e32 v17, v17, v20
	;; [unrolled: 21-line block ×6, first 2 shown]
	v_cmp_gt_u32_e32 vcc, s17, v17
	s_and_saveexec_b64 s[2:3], vcc
	s_cbranch_execz .LBB21_20
; %bb.19:
	v_mov_b32_e32 v18, 0
	v_lshlrev_b64 v[15:16], 3, v[17:18]
	v_mov_b32_e32 v19, s7
	v_add_co_u32_e32 v20, vcc, s5, v15
	v_addc_co_u32_e32 v19, vcc, v19, v16, vcc
	v_subrev_co_u32_e32 v17, vcc, s19, v17
	v_lshlrev_b64 v[15:16], 3, v[17:18]
	v_mov_b32_e32 v17, s8
	v_add_co_u32_e64 v15, s[0:1], s4, v15
	v_addc_co_u32_e64 v16, s[0:1], v17, v16, s[0:1]
	v_cndmask_b32_e32 v16, v16, v19, vcc
	v_cndmask_b32_e32 v15, v15, v20, vcc
	global_load_dwordx2 v[15:16], v[15:16], off
.LBB21_20:
	s_or_b64 exec, exec, s[2:3]
.LBB21_21:
	v_min_u32_e32 v18, s17, v21
	v_sub_u32_e64 v17, v18, s33 clamp
	v_min_u32_e32 v19, s19, v18
	v_cmp_lt_u32_e32 vcc, v17, v19
	s_waitcnt vmcnt(0)
	ds_write2st64_b64 v21, v[1:2], v[3:4] offset1:2
	ds_write2st64_b64 v21, v[5:6], v[7:8] offset0:4 offset1:6
	ds_write2st64_b64 v21, v[9:10], v[11:12] offset0:8 offset1:10
	;; [unrolled: 1-line block ×3, first 2 shown]
	s_waitcnt lgkmcnt(0)
	s_barrier
	s_and_saveexec_b64 s[0:1], vcc
	s_cbranch_execz .LBB21_25
; %bb.22:
	v_lshlrev_b32_e32 v20, 3, v18
	v_lshl_add_u32 v20, s19, 3, v20
	s_mov_b64 s[2:3], 0
.LBB21_23:                              ; =>This Inner Loop Header: Depth=1
	v_add_u32_e32 v22, v19, v17
	v_lshrrev_b32_e32 v26, 1, v22
	v_not_b32_e32 v24, v26
	v_lshlrev_b32_e32 v22, 3, v26
	v_lshl_add_u32 v24, v24, 3, v20
	ds_read_b64 v[22:23], v22
	ds_read_b64 v[24:25], v24
	v_add_u32_e32 v27, 1, v26
	s_waitcnt lgkmcnt(1)
	v_and_b32_e32 v23, s21, v23
	v_and_b32_e32 v22, s20, v22
	s_waitcnt lgkmcnt(0)
	v_and_b32_e32 v25, s21, v25
	v_and_b32_e32 v24, s20, v24
	v_cmp_gt_u64_e32 vcc, v[22:23], v[24:25]
	v_cndmask_b32_e32 v19, v19, v26, vcc
	v_cndmask_b32_e32 v17, v27, v17, vcc
	v_cmp_ge_u32_e32 vcc, v17, v19
	s_or_b64 s[2:3], vcc, s[2:3]
	s_andn2_b64 exec, exec, s[2:3]
	s_cbranch_execnz .LBB21_23
; %bb.24:
	s_or_b64 exec, exec, s[2:3]
.LBB21_25:
	s_or_b64 exec, exec, s[0:1]
	v_sub_u32_e32 v18, v18, v17
	v_add_u32_e32 v18, s19, v18
	v_cmp_ge_u32_e32 vcc, s19, v17
	v_cmp_ge_u32_e64 s[0:1], s17, v18
	s_or_b64 s[0:1], vcc, s[0:1]
	v_mov_b32_e32 v22, 0
	v_mov_b32_e32 v23, 0
	;; [unrolled: 1-line block ×8, first 2 shown]
	s_and_saveexec_b64 s[34:35], s[0:1]
	s_cbranch_execz .LBB21_31
; %bb.26:
	v_cmp_gt_u32_e32 vcc, s19, v17
                                        ; implicit-def: $vgpr1_vgpr2
	s_and_saveexec_b64 s[0:1], vcc
; %bb.27:
	v_lshlrev_b32_e32 v1, 3, v17
	ds_read_b64 v[1:2], v1
; %bb.28:
	s_or_b64 exec, exec, s[0:1]
	v_cmp_le_u32_e64 s[0:1], s17, v18
	v_cmp_gt_u32_e64 s[2:3], s17, v18
                                        ; implicit-def: $vgpr3_vgpr4
	s_and_saveexec_b64 s[4:5], s[2:3]
; %bb.29:
	v_lshlrev_b32_e32 v3, 3, v18
	ds_read_b64 v[3:4], v3
; %bb.30:
	s_or_b64 exec, exec, s[4:5]
	s_waitcnt lgkmcnt(0)
	v_and_b32_e32 v6, s21, v4
	v_and_b32_e32 v5, s20, v3
	;; [unrolled: 1-line block ×4, first 2 shown]
	v_cmp_le_u64_e64 s[2:3], v[7:8], v[5:6]
	v_mov_b32_e32 v15, s17
	s_and_b64 s[2:3], vcc, s[2:3]
	s_or_b64 vcc, s[0:1], s[2:3]
	v_mov_b32_e32 v16, s19
	v_cndmask_b32_e32 v22, v18, v17, vcc
	v_cndmask_b32_e32 v5, v15, v16, vcc
	v_add_u32_e32 v7, 1, v22
	v_add_u32_e32 v5, -1, v5
	v_min_u32_e32 v5, v7, v5
	v_lshlrev_b32_e32 v5, 3, v5
	ds_read_b64 v[5:6], v5
	v_cndmask_b32_e32 v13, v7, v18, vcc
	v_cndmask_b32_e32 v14, v17, v7, vcc
	v_cmp_gt_u32_e64 s[4:5], s19, v14
	v_cmp_le_u32_e64 s[0:1], s17, v13
	s_waitcnt lgkmcnt(0)
	v_cndmask_b32_e32 v9, v6, v4, vcc
	v_cndmask_b32_e32 v10, v5, v3, vcc
	;; [unrolled: 1-line block ×4, first 2 shown]
	v_and_b32_e32 v6, s21, v9
	v_and_b32_e32 v5, s20, v10
	;; [unrolled: 1-line block ×4, first 2 shown]
	v_cmp_le_u64_e64 s[2:3], v[7:8], v[5:6]
	v_cndmask_b32_e32 v2, v4, v2, vcc
	s_and_b64 s[2:3], s[4:5], s[2:3]
	s_or_b64 s[0:1], s[0:1], s[2:3]
	v_cndmask_b32_e64 v23, v13, v14, s[0:1]
	v_cndmask_b32_e64 v5, v15, v16, s[0:1]
	v_add_u32_e32 v7, 1, v23
	v_add_u32_e32 v5, -1, v5
	v_min_u32_e32 v5, v7, v5
	v_lshlrev_b32_e32 v5, 3, v5
	ds_read_b64 v[5:6], v5
	v_cndmask_b32_e64 v13, v7, v13, s[0:1]
	v_cndmask_b32_e64 v14, v14, v7, s[0:1]
	v_cmp_gt_u32_e64 s[6:7], s19, v14
	v_cmp_le_u32_e64 s[2:3], s17, v13
	s_waitcnt lgkmcnt(0)
	v_cndmask_b32_e64 v17, v6, v9, s[0:1]
	v_cndmask_b32_e64 v18, v5, v10, s[0:1]
	;; [unrolled: 1-line block ×4, first 2 shown]
	v_and_b32_e32 v6, s21, v17
	v_and_b32_e32 v5, s20, v18
	;; [unrolled: 1-line block ×4, first 2 shown]
	v_cmp_le_u64_e64 s[4:5], v[7:8], v[5:6]
	v_cndmask_b32_e32 v1, v3, v1, vcc
	s_and_b64 s[4:5], s[6:7], s[4:5]
	s_or_b64 s[2:3], s[2:3], s[4:5]
	v_cndmask_b32_e64 v24, v13, v14, s[2:3]
	v_cndmask_b32_e64 v5, v15, v16, s[2:3]
	v_add_u32_e32 v7, 1, v24
	v_add_u32_e32 v5, -1, v5
	v_min_u32_e32 v5, v7, v5
	v_lshlrev_b32_e32 v5, 3, v5
	ds_read_b64 v[5:6], v5
	v_cndmask_b32_e64 v13, v7, v13, s[2:3]
	v_cndmask_b32_e64 v14, v14, v7, s[2:3]
	v_cmp_gt_u32_e64 s[8:9], s19, v14
	v_cmp_le_u32_e64 s[4:5], s17, v13
	s_waitcnt lgkmcnt(0)
	v_cndmask_b32_e64 v28, v6, v17, s[2:3]
	v_cndmask_b32_e64 v29, v5, v18, s[2:3]
	;; [unrolled: 1-line block ×4, first 2 shown]
	v_and_b32_e32 v6, s21, v28
	v_and_b32_e32 v5, s20, v29
	;; [unrolled: 1-line block ×4, first 2 shown]
	v_cmp_le_u64_e64 s[6:7], v[7:8], v[5:6]
	s_and_b64 s[6:7], s[8:9], s[6:7]
	s_or_b64 s[4:5], s[4:5], s[6:7]
	v_cndmask_b32_e64 v25, v13, v14, s[4:5]
	v_cndmask_b32_e64 v5, v15, v16, s[4:5]
	v_add_u32_e32 v7, 1, v25
	v_add_u32_e32 v5, -1, v5
	v_min_u32_e32 v5, v7, v5
	v_lshlrev_b32_e32 v5, 3, v5
	ds_read_b64 v[5:6], v5
	v_cndmask_b32_e64 v14, v14, v7, s[4:5]
	v_cndmask_b32_e64 v13, v7, v13, s[4:5]
	v_cmp_gt_u32_e64 s[8:9], s19, v14
	v_cmp_le_u32_e32 vcc, s17, v13
	s_waitcnt lgkmcnt(0)
	v_cndmask_b32_e64 v32, v6, v28, s[4:5]
	v_cndmask_b32_e64 v33, v5, v29, s[4:5]
	;; [unrolled: 1-line block ×4, first 2 shown]
	v_and_b32_e32 v4, s21, v32
	v_and_b32_e32 v3, s20, v33
	;; [unrolled: 1-line block ×4, first 2 shown]
	v_cmp_le_u64_e64 s[6:7], v[5:6], v[3:4]
	v_cndmask_b32_e64 v6, v17, v19, s[2:3]
	s_and_b64 s[6:7], s[8:9], s[6:7]
	s_or_b64 vcc, vcc, s[6:7]
	v_cndmask_b32_e32 v26, v13, v14, vcc
	v_cndmask_b32_e32 v3, v15, v16, vcc
	v_add_u32_e32 v27, 1, v26
	v_add_u32_e32 v3, -1, v3
	v_min_u32_e32 v3, v27, v3
	v_lshlrev_b32_e32 v3, 3, v3
	ds_read_b64 v[7:8], v3
	v_cndmask_b32_e64 v5, v18, v20, s[2:3]
	v_cndmask_b32_e64 v4, v9, v11, s[0:1]
	;; [unrolled: 1-line block ×3, first 2 shown]
	v_cndmask_b32_e32 v14, v14, v27, vcc
	s_waitcnt lgkmcnt(0)
	v_cndmask_b32_e32 v17, v8, v32, vcc
	v_cndmask_b32_e32 v18, v7, v33, vcc
	;; [unrolled: 1-line block ×4, first 2 shown]
	v_and_b32_e32 v8, s21, v17
	v_and_b32_e32 v7, s20, v18
	;; [unrolled: 1-line block ×4, first 2 shown]
	v_cmp_le_u64_e64 s[2:3], v[9:10], v[7:8]
	v_cndmask_b32_e32 v13, v27, v13, vcc
	v_cmp_gt_u32_e64 s[6:7], s19, v14
	v_cmp_le_u32_e64 s[0:1], s17, v13
	s_and_b64 s[2:3], s[6:7], s[2:3]
	s_or_b64 s[0:1], s[0:1], s[2:3]
	v_cndmask_b32_e64 v27, v13, v14, s[0:1]
	v_cndmask_b32_e64 v7, v15, v16, s[0:1]
	v_add_u32_e32 v36, 1, v27
	v_add_u32_e32 v7, -1, v7
	v_min_u32_e32 v7, v36, v7
	v_lshlrev_b32_e32 v7, 3, v7
	ds_read_b64 v[11:12], v7
	v_cndmask_b32_e64 v8, v28, v30, s[4:5]
	v_cndmask_b32_e64 v7, v29, v31, s[4:5]
	v_cndmask_b32_e32 v10, v32, v34, vcc
	v_cndmask_b32_e32 v9, v33, v35, vcc
	s_waitcnt lgkmcnt(0)
	v_cndmask_b32_e64 v28, v12, v17, s[0:1]
	v_cndmask_b32_e64 v30, v11, v18, s[0:1]
	;; [unrolled: 1-line block ×6, first 2 shown]
	v_and_b32_e32 v12, s21, v28
	v_and_b32_e32 v11, s20, v30
	;; [unrolled: 1-line block ×4, first 2 shown]
	v_cmp_le_u64_e64 s[2:3], v[13:14], v[11:12]
	v_cmp_gt_u32_e64 s[4:5], s19, v34
	v_cmp_le_u32_e32 vcc, s17, v33
	s_and_b64 s[2:3], s[4:5], s[2:3]
	s_or_b64 vcc, vcc, s[2:3]
	v_cndmask_b32_e32 v29, v33, v34, vcc
	v_cndmask_b32_e32 v11, v15, v16, vcc
	v_add_u32_e32 v35, 1, v29
	v_add_u32_e32 v11, -1, v11
	v_min_u32_e32 v11, v35, v11
	v_lshlrev_b32_e32 v11, 3, v11
	ds_read_b64 v[15:16], v11
	v_cndmask_b32_e64 v12, v17, v19, s[0:1]
	v_cndmask_b32_e64 v11, v18, v20, s[0:1]
	v_cndmask_b32_e32 v14, v28, v31, vcc
	v_cndmask_b32_e32 v13, v30, v32, vcc
	s_waitcnt lgkmcnt(0)
	v_cndmask_b32_e32 v19, v16, v28, vcc
	v_cndmask_b32_e32 v20, v15, v30, vcc
	;; [unrolled: 1-line block ×4, first 2 shown]
	v_and_b32_e32 v16, s21, v19
	v_and_b32_e32 v15, s20, v20
	;; [unrolled: 1-line block ×4, first 2 shown]
	v_cndmask_b32_e32 v32, v34, v35, vcc
	v_cmp_le_u64_e64 s[0:1], v[17:18], v[15:16]
	v_cndmask_b32_e32 v28, v35, v33, vcc
	v_cmp_gt_u32_e64 s[2:3], s19, v32
	v_cmp_le_u32_e32 vcc, s17, v28
	s_and_b64 s[0:1], s[2:3], s[0:1]
	s_or_b64 vcc, vcc, s[0:1]
	v_cndmask_b32_e32 v28, v28, v32, vcc
	v_cndmask_b32_e32 v16, v19, v30, vcc
	;; [unrolled: 1-line block ×3, first 2 shown]
.LBB21_31:
	s_or_b64 exec, exec, s[34:35]
	s_add_u32 s8, s12, s28
	s_addc_u32 s9, s13, s29
	s_add_u32 s6, s12, s30
	v_cndmask_b32_e64 v17, 0, 1, s[24:25]
	s_addc_u32 s7, s13, s31
	v_cmp_gt_u32_e64 s[4:5], s19, v0
	v_cmp_ne_u32_e64 s[0:1], 1, v17
	s_andn2_b64 vcc, exec, s[24:25]
	v_cmp_le_u32_e64 s[2:3], s19, v0
	s_barrier
	s_cbranch_vccnz .LBB21_33
; %bb.32:
	v_subrev_u32_e32 v17, s19, v0
	v_lshlrev_b32_e32 v17, 3, v17
	v_mov_b32_e32 v18, s7
	v_add_co_u32_e32 v17, vcc, s6, v17
	v_addc_co_u32_e32 v18, vcc, 0, v18, vcc
	v_mov_b32_e32 v19, s9
	v_add_co_u32_e32 v20, vcc, s8, v21
	v_addc_co_u32_e32 v19, vcc, 0, v19, vcc
	v_cndmask_b32_e64 v18, v18, v19, s[4:5]
	v_or_b32_e32 v19, 0x80, v0
	v_cndmask_b32_e64 v17, v17, v20, s[4:5]
	v_subrev_u32_e32 v20, s19, v19
	v_min_u32_e32 v20, v19, v20
	v_cmp_gt_u32_e32 vcc, s19, v19
	v_mov_b32_e32 v42, s6
	v_mov_b32_e32 v43, s8
	;; [unrolled: 1-line block ×4, first 2 shown]
	v_cndmask_b32_e32 v19, v42, v43, vcc
	v_lshlrev_b32_e32 v20, 3, v20
	v_cndmask_b32_e32 v30, v40, v41, vcc
	v_add_co_u32_e32 v19, vcc, v19, v20
	v_addc_co_u32_e32 v20, vcc, 0, v30, vcc
	v_or_b32_e32 v30, 0x100, v0
	v_subrev_u32_e32 v31, s19, v30
	v_min_u32_e32 v31, v30, v31
	v_cmp_gt_u32_e32 vcc, s19, v30
	v_cndmask_b32_e32 v30, v42, v43, vcc
	v_lshlrev_b32_e32 v31, 3, v31
	v_cndmask_b32_e32 v32, v40, v41, vcc
	v_add_co_u32_e32 v30, vcc, v30, v31
	v_addc_co_u32_e32 v31, vcc, 0, v32, vcc
	v_or_b32_e32 v32, 0x180, v0
	v_subrev_u32_e32 v33, s19, v32
	v_min_u32_e32 v33, v32, v33
	v_cmp_gt_u32_e32 vcc, s19, v32
	;; [unrolled: 9-line block ×5, first 2 shown]
	global_load_dwordx2 v[17:18], v[17:18], off
	v_cndmask_b32_e32 v38, v42, v43, vcc
	global_load_dwordx2 v[19:20], v[19:20], off
	v_lshlrev_b32_e32 v39, 3, v39
	global_load_dwordx2 v[30:31], v[30:31], off
	v_cndmask_b32_e32 v44, v40, v41, vcc
	global_load_dwordx2 v[32:33], v[32:33], off
	v_add_co_u32_e32 v38, vcc, v38, v39
	global_load_dwordx2 v[34:35], v[34:35], off
	v_addc_co_u32_e32 v39, vcc, 0, v44, vcc
	global_load_dwordx2 v[36:37], v[36:37], off
	s_nop 0
	global_load_dwordx2 v[38:39], v[38:39], off
	s_mov_b64 s[4:5], -1
	s_waitcnt vmcnt(5)
	ds_write2st64_b64 v21, v[17:18], v[19:20] offset1:2
	s_waitcnt vmcnt(3)
	ds_write2st64_b64 v21, v[30:31], v[32:33] offset0:4 offset1:6
	s_waitcnt vmcnt(1)
	ds_write2st64_b64 v21, v[34:35], v[36:37] offset0:8 offset1:10
	s_waitcnt vmcnt(0)
	ds_write_b64 v21, v[38:39] offset:6144
	v_or_b32_e32 v30, 0x380, v0
	v_subrev_u32_e32 v17, s19, v30
	v_cmp_gt_u32_e32 vcc, s19, v30
	v_min_u32_e32 v19, v30, v17
	v_cndmask_b32_e32 v18, v40, v41, vcc
	v_cndmask_b32_e32 v17, v42, v43, vcc
	s_cbranch_execz .LBB21_34
	s_branch .LBB21_65
.LBB21_33:
	s_mov_b64 s[4:5], 0
                                        ; implicit-def: $vgpr30
                                        ; implicit-def: $vgpr17_vgpr18
                                        ; implicit-def: $vgpr19
.LBB21_34:
	s_mov_b64 s[4:5], 0
                                        ; implicit-def: $vgpr17_vgpr18
	s_and_saveexec_b64 s[20:21], s[2:3]
	s_xor_b64 s[2:3], exec, s[20:21]
	s_cbranch_execnz .LBB21_104
; %bb.35:
	s_andn2_saveexec_b64 s[2:3], s[2:3]
	s_cbranch_execnz .LBB21_107
.LBB21_36:
	s_or_b64 exec, exec, s[2:3]
	s_and_saveexec_b64 s[2:3], s[4:5]
	s_cbranch_execz .LBB21_38
.LBB21_37:
	global_load_dwordx2 v[17:18], v[17:18], off
	s_waitcnt vmcnt(0)
	ds_write_b64 v21, v[17:18]
.LBB21_38:
	s_or_b64 exec, exec, s[2:3]
	v_or_b32_e32 v19, 0x80, v0
	v_mov_b32_e32 v17, s22
	v_cmp_le_u32_e32 vcc, s19, v19
	s_mov_b64 s[2:3], -1
	v_mov_b32_e32 v18, s23
	s_and_saveexec_b64 s[4:5], vcc
; %bb.39:
	v_subrev_u32_e32 v19, s19, v19
	v_cmp_gt_u32_e32 vcc, s33, v19
	v_mov_b32_e32 v17, s26
	v_mov_b32_e32 v18, s27
	s_orn2_b64 s[2:3], vcc, exec
; %bb.40:
	s_or_b64 exec, exec, s[4:5]
	s_and_saveexec_b64 s[4:5], s[2:3]
	s_cbranch_execz .LBB21_42
; %bb.41:
	v_lshlrev_b64 v[17:18], 3, v[17:18]
	v_mov_b32_e32 v20, s13
	v_add_co_u32_e32 v17, vcc, s12, v17
	v_addc_co_u32_e32 v18, vcc, v20, v18, vcc
	v_lshlrev_b32_e32 v19, 3, v19
	v_add_co_u32_e32 v17, vcc, v17, v19
	v_addc_co_u32_e32 v18, vcc, 0, v18, vcc
	global_load_dwordx2 v[17:18], v[17:18], off
	s_waitcnt vmcnt(0)
	ds_write_b64 v21, v[17:18] offset:1024
.LBB21_42:
	s_or_b64 exec, exec, s[4:5]
	v_or_b32_e32 v19, 0x100, v0
	v_mov_b32_e32 v17, s22
	v_cmp_le_u32_e32 vcc, s19, v19
	s_mov_b64 s[2:3], -1
	v_mov_b32_e32 v18, s23
	s_and_saveexec_b64 s[4:5], vcc
; %bb.43:
	v_subrev_u32_e32 v19, s19, v19
	v_cmp_gt_u32_e32 vcc, s33, v19
	v_mov_b32_e32 v17, s26
	v_mov_b32_e32 v18, s27
	s_orn2_b64 s[2:3], vcc, exec
; %bb.44:
	s_or_b64 exec, exec, s[4:5]
	s_and_saveexec_b64 s[4:5], s[2:3]
	s_cbranch_execz .LBB21_46
; %bb.45:
	v_lshlrev_b64 v[17:18], 3, v[17:18]
	v_mov_b32_e32 v20, s13
	v_add_co_u32_e32 v17, vcc, s12, v17
	v_addc_co_u32_e32 v18, vcc, v20, v18, vcc
	v_lshlrev_b32_e32 v19, 3, v19
	v_add_co_u32_e32 v17, vcc, v17, v19
	v_addc_co_u32_e32 v18, vcc, 0, v18, vcc
	global_load_dwordx2 v[17:18], v[17:18], off
	s_waitcnt vmcnt(0)
	ds_write_b64 v21, v[17:18] offset:2048
.LBB21_46:
	;; [unrolled: 29-line block ×6, first 2 shown]
	s_or_b64 exec, exec, s[4:5]
	v_or_b32_e32 v30, 0x380, v0
	v_mov_b32_e32 v18, s9
	v_cmp_le_u32_e32 vcc, s19, v30
	s_mov_b64 s[4:5], -1
	v_mov_b32_e32 v17, s8
	v_mov_b32_e32 v19, v30
	s_and_saveexec_b64 s[2:3], vcc
; %bb.63:
	v_subrev_u32_e32 v19, s19, v30
	v_cmp_gt_u32_e32 vcc, s33, v19
	v_mov_b32_e32 v18, s7
	v_mov_b32_e32 v17, s6
	s_orn2_b64 s[4:5], vcc, exec
; %bb.64:
	s_or_b64 exec, exec, s[2:3]
.LBB21_65:
	s_and_saveexec_b64 s[2:3], s[4:5]
	s_cbranch_execz .LBB21_67
; %bb.66:
	v_mov_b32_e32 v20, 0
	v_lshlrev_b64 v[19:20], 3, v[19:20]
	v_add_co_u32_e32 v17, vcc, v17, v19
	v_addc_co_u32_e32 v18, vcc, v18, v20, vcc
	global_load_dwordx2 v[17:18], v[17:18], off
	v_lshlrev_b32_e32 v19, 3, v30
	s_waitcnt vmcnt(0)
	ds_write_b64 v19, v[17:18]
.LBB21_67:
	s_or_b64 exec, exec, s[2:3]
	s_and_b64 vcc, exec, s[0:1]
	v_add_u32_e32 v17, s18, v21
	s_waitcnt lgkmcnt(0)
	s_barrier
	s_cbranch_vccnz .LBB21_69
; %bb.68:
	v_lshlrev_b32_e32 v30, 3, v22
	v_lshlrev_b32_e32 v32, 3, v23
	;; [unrolled: 1-line block ×7, first 2 shown]
	v_mov_b32_e32 v18, 0
	ds_read_b64 v[30:31], v30
	ds_read_b64 v[32:33], v32
	;; [unrolled: 1-line block ×7, first 2 shown]
	v_lshlrev_b64 v[19:20], 3, v[17:18]
	v_mov_b32_e32 v44, s15
	v_add_co_u32_e32 v19, vcc, s14, v19
	v_addc_co_u32_e32 v20, vcc, v44, v20, vcc
	s_mov_b64 s[0:1], -1
	s_waitcnt lgkmcnt(5)
	global_store_dwordx4 v[19:20], v[30:33], off
	s_waitcnt lgkmcnt(3)
	global_store_dwordx4 v[19:20], v[34:37], off offset:16
	s_waitcnt lgkmcnt(1)
	global_store_dwordx4 v[19:20], v[38:41], off offset:32
	s_waitcnt lgkmcnt(0)
	global_store_dwordx2 v[19:20], v[42:43], off offset:48
	s_cbranch_execz .LBB21_70
	s_branch .LBB21_87
.LBB21_69:
	s_mov_b64 s[0:1], 0
.LBB21_70:
	v_cmp_gt_u32_e32 vcc, s17, v21
	s_and_saveexec_b64 s[2:3], vcc
	s_cbranch_execz .LBB21_72
; %bb.71:
	v_lshlrev_b32_e32 v22, 3, v22
	v_mov_b32_e32 v18, 0
	ds_read_b64 v[30:31], v22
	v_lshlrev_b64 v[18:19], 3, v[17:18]
	v_mov_b32_e32 v20, s15
	v_add_co_u32_e32 v18, vcc, s14, v18
	v_addc_co_u32_e32 v19, vcc, v20, v19, vcc
	s_waitcnt lgkmcnt(0)
	global_store_dwordx2 v[18:19], v[30:31], off
.LBB21_72:
	s_or_b64 exec, exec, s[2:3]
	v_or_b32_e32 v18, 1, v21
	v_cmp_gt_u32_e32 vcc, s17, v18
	s_and_saveexec_b64 s[2:3], vcc
	s_cbranch_execz .LBB21_74
; %bb.73:
	v_lshlrev_b32_e32 v22, 3, v23
	v_mov_b32_e32 v18, 0
	ds_read_b64 v[22:23], v22
	v_lshlrev_b64 v[18:19], 3, v[17:18]
	v_mov_b32_e32 v20, s15
	v_add_co_u32_e32 v18, vcc, s14, v18
	v_addc_co_u32_e32 v19, vcc, v20, v19, vcc
	s_waitcnt lgkmcnt(0)
	global_store_dwordx2 v[18:19], v[22:23], off offset:8
.LBB21_74:
	s_or_b64 exec, exec, s[2:3]
	v_or_b32_e32 v18, 2, v21
	v_cmp_gt_u32_e32 vcc, s17, v18
	s_and_saveexec_b64 s[2:3], vcc
	s_cbranch_execz .LBB21_76
; %bb.75:
	v_lshlrev_b32_e32 v22, 3, v24
	v_mov_b32_e32 v18, 0
	ds_read_b64 v[22:23], v22
	v_lshlrev_b64 v[18:19], 3, v[17:18]
	v_mov_b32_e32 v20, s15
	v_add_co_u32_e32 v18, vcc, s14, v18
	v_addc_co_u32_e32 v19, vcc, v20, v19, vcc
	s_waitcnt lgkmcnt(0)
	global_store_dwordx2 v[18:19], v[22:23], off offset:16
.LBB21_76:
	;; [unrolled: 16-line block ×6, first 2 shown]
	s_or_b64 exec, exec, s[2:3]
	v_or_b32_e32 v18, 7, v21
	v_cmp_gt_u32_e32 vcc, s17, v18
	s_and_saveexec_b64 s[2:3], vcc
; %bb.85:
	v_mov_b32_e32 v18, 0
	s_or_b64 s[0:1], s[0:1], exec
; %bb.86:
	s_or_b64 exec, exec, s[2:3]
.LBB21_87:
	s_and_saveexec_b64 s[2:3], s[0:1]
	s_cbranch_execz .LBB21_89
; %bb.88:
	v_lshlrev_b32_e32 v19, 3, v28
	ds_read_b64 v[19:20], v19
	v_lshlrev_b64 v[17:18], 3, v[17:18]
	v_mov_b32_e32 v22, s15
	v_add_co_u32_e32 v17, vcc, s14, v17
	v_addc_co_u32_e32 v18, vcc, v22, v18, vcc
	s_waitcnt lgkmcnt(0)
	global_store_dwordx2 v[17:18], v[19:20], off offset:56
.LBB21_89:
	s_or_b64 exec, exec, s[2:3]
	v_lshrrev_b32_e32 v17, 2, v0
	v_lshlrev_b32_e32 v18, 3, v21
	v_lshl_add_u32 v18, v17, 3, v18
	s_waitcnt vmcnt(0)
	s_barrier
	s_barrier
	ds_write2_b64 v18, v[1:2], v[3:4] offset1:1
	ds_write2_b64 v18, v[5:6], v[7:8] offset0:2 offset1:3
	ds_write2_b64 v18, v[9:10], v[11:12] offset0:4 offset1:5
	;; [unrolled: 1-line block ×3, first 2 shown]
	v_and_b32_e32 v1, 24, v17
	v_or_b32_e32 v24, 0x80, v0
	v_add_u32_e32 v25, v1, v21
	v_lshrrev_b32_e32 v1, 2, v24
	v_and_b32_e32 v1, 56, v1
	v_or_b32_e32 v23, 0x100, v0
	v_add_u32_e32 v5, v1, v21
	v_lshrrev_b32_e32 v1, 2, v23
	;; [unrolled: 4-line block ×5, first 2 shown]
	v_and_b32_e32 v1, 0xb8, v1
	v_or_b32_e32 v18, 0x300, v0
	s_mov_b32 s19, 0
	v_add_u32_e32 v26, v1, v21
	v_lshrrev_b32_e32 v1, 2, v18
	s_lshl_b64 s[0:1], s[18:19], 3
	v_and_b32_e32 v1, 0xd8, v1
	v_or_b32_e32 v17, 0x380, v0
	s_add_u32 s0, s10, s0
	v_add_u32_e32 v27, v1, v21
	v_lshrrev_b32_e32 v1, 2, v17
	s_addc_u32 s1, s11, s1
	v_and_b32_e32 v1, 0xf8, v1
	v_add_u32_e32 v28, v1, v21
	v_mov_b32_e32 v2, s1
	v_add_co_u32_e32 v1, vcc, s0, v21
	v_addc_co_u32_e32 v2, vcc, 0, v2, vcc
	s_and_b64 vcc, exec, s[24:25]
	s_waitcnt lgkmcnt(0)
	s_cbranch_vccz .LBB21_91
; %bb.90:
	s_barrier
	ds_read_b64 v[9:10], v25
	ds_read_b64 v[11:12], v5 offset:1024
	ds_read_b64 v[13:14], v6 offset:2048
	;; [unrolled: 1-line block ×7, first 2 shown]
	s_waitcnt lgkmcnt(7)
	global_store_dwordx2 v[1:2], v[9:10], off
	s_waitcnt lgkmcnt(6)
	global_store_dwordx2 v[1:2], v[11:12], off offset:1024
	s_waitcnt lgkmcnt(5)
	global_store_dwordx2 v[1:2], v[13:14], off offset:2048
	;; [unrolled: 2-line block ×3, first 2 shown]
	v_add_co_u32_e32 v9, vcc, 0x1000, v1
	v_addc_co_u32_e32 v10, vcc, 0, v2, vcc
	s_waitcnt lgkmcnt(3)
	global_store_dwordx2 v[9:10], v[29:30], off
	s_waitcnt lgkmcnt(2)
	global_store_dwordx2 v[9:10], v[31:32], off offset:1024
	s_waitcnt lgkmcnt(1)
	global_store_dwordx2 v[9:10], v[33:34], off offset:2048
	s_mov_b64 s[0:1], -1
	s_cbranch_execz .LBB21_92
	s_branch .LBB21_101
.LBB21_91:
	s_mov_b64 s[0:1], 0
                                        ; implicit-def: $vgpr3_vgpr4
.LBB21_92:
	s_waitcnt vmcnt(0) lgkmcnt(0)
	s_barrier
	ds_read_b64 v[15:16], v5 offset:1024
	ds_read_b64 v[13:14], v6 offset:2048
	;; [unrolled: 1-line block ×7, first 2 shown]
	s_sub_i32 s2, s16, s18
	v_cmp_gt_u32_e32 vcc, s2, v0
	s_and_saveexec_b64 s[0:1], vcc
	s_cbranch_execnz .LBB21_108
; %bb.93:
	s_or_b64 exec, exec, s[0:1]
	v_cmp_gt_u32_e32 vcc, s2, v24
	s_and_saveexec_b64 s[0:1], vcc
	s_cbranch_execnz .LBB21_109
.LBB21_94:
	s_or_b64 exec, exec, s[0:1]
	v_cmp_gt_u32_e32 vcc, s2, v23
	s_and_saveexec_b64 s[0:1], vcc
	s_cbranch_execnz .LBB21_110
.LBB21_95:
	s_or_b64 exec, exec, s[0:1]
	v_cmp_gt_u32_e32 vcc, s2, v22
	s_and_saveexec_b64 s[0:1], vcc
	s_cbranch_execnz .LBB21_111
.LBB21_96:
	s_or_b64 exec, exec, s[0:1]
	v_cmp_gt_u32_e32 vcc, s2, v20
	s_and_saveexec_b64 s[0:1], vcc
	s_cbranch_execnz .LBB21_112
.LBB21_97:
	s_or_b64 exec, exec, s[0:1]
	v_cmp_gt_u32_e32 vcc, s2, v19
	s_and_saveexec_b64 s[0:1], vcc
	s_cbranch_execnz .LBB21_113
.LBB21_98:
	s_or_b64 exec, exec, s[0:1]
	v_cmp_gt_u32_e32 vcc, s2, v18
	s_and_saveexec_b64 s[0:1], vcc
	s_cbranch_execz .LBB21_100
.LBB21_99:
	s_waitcnt lgkmcnt(2)
	v_add_co_u32_e32 v7, vcc, 0x1000, v1
	v_addc_co_u32_e32 v8, vcc, 0, v2, vcc
	s_waitcnt lgkmcnt(1)
	global_store_dwordx2 v[7:8], v[5:6], off offset:2048
.LBB21_100:
	s_or_b64 exec, exec, s[0:1]
	v_cmp_gt_u32_e64 s[0:1], s2, v17
.LBB21_101:
	s_and_saveexec_b64 s[2:3], s[0:1]
	s_cbranch_execz .LBB21_103
; %bb.102:
	v_add_co_u32_e32 v0, vcc, 0x1000, v1
	v_addc_co_u32_e32 v1, vcc, 0, v2, vcc
	s_waitcnt lgkmcnt(0)
	global_store_dwordx2 v[0:1], v[3:4], off offset:3072
.LBB21_103:
	s_endpgm
.LBB21_104:
	v_subrev_u32_e32 v19, s19, v0
	v_cmp_gt_u32_e32 vcc, s33, v19
                                        ; implicit-def: $vgpr17_vgpr18
	s_and_saveexec_b64 s[20:21], vcc
	s_xor_b64 s[20:21], exec, s[20:21]
; %bb.105:
	v_lshlrev_b32_e32 v17, 3, v19
	v_mov_b32_e32 v18, s7
	v_add_co_u32_e32 v17, vcc, s6, v17
	s_mov_b64 s[4:5], exec
	v_addc_co_u32_e32 v18, vcc, 0, v18, vcc
; %bb.106:
	s_or_b64 exec, exec, s[20:21]
	s_and_b64 s[4:5], s[4:5], exec
	s_andn2_saveexec_b64 s[2:3], s[2:3]
	s_cbranch_execz .LBB21_36
.LBB21_107:
	v_mov_b32_e32 v18, s9
	v_add_co_u32_e32 v17, vcc, s8, v21
	v_addc_co_u32_e32 v18, vcc, 0, v18, vcc
	s_or_b64 s[4:5], s[4:5], exec
	s_or_b64 exec, exec, s[2:3]
	s_and_saveexec_b64 s[2:3], s[4:5]
	s_cbranch_execnz .LBB21_37
	s_branch .LBB21_38
.LBB21_108:
	ds_read_b64 v[25:26], v25
	s_waitcnt lgkmcnt(0)
	global_store_dwordx2 v[1:2], v[25:26], off
	s_or_b64 exec, exec, s[0:1]
	v_cmp_gt_u32_e32 vcc, s2, v24
	s_and_saveexec_b64 s[0:1], vcc
	s_cbranch_execz .LBB21_94
.LBB21_109:
	s_waitcnt lgkmcnt(6)
	global_store_dwordx2 v[1:2], v[15:16], off offset:1024
	s_or_b64 exec, exec, s[0:1]
	v_cmp_gt_u32_e32 vcc, s2, v23
	s_and_saveexec_b64 s[0:1], vcc
	s_cbranch_execz .LBB21_95
.LBB21_110:
	s_waitcnt lgkmcnt(5)
	global_store_dwordx2 v[1:2], v[13:14], off offset:2048
	s_or_b64 exec, exec, s[0:1]
	v_cmp_gt_u32_e32 vcc, s2, v22
	s_and_saveexec_b64 s[0:1], vcc
	s_cbranch_execz .LBB21_96
.LBB21_111:
	s_waitcnt lgkmcnt(4)
	global_store_dwordx2 v[1:2], v[11:12], off offset:3072
	s_or_b64 exec, exec, s[0:1]
	v_cmp_gt_u32_e32 vcc, s2, v20
	s_and_saveexec_b64 s[0:1], vcc
	s_cbranch_execz .LBB21_97
.LBB21_112:
	s_waitcnt lgkmcnt(4)
	v_add_co_u32_e32 v11, vcc, 0x1000, v1
	v_addc_co_u32_e32 v12, vcc, 0, v2, vcc
	s_waitcnt lgkmcnt(3)
	global_store_dwordx2 v[11:12], v[9:10], off
	s_or_b64 exec, exec, s[0:1]
	v_cmp_gt_u32_e32 vcc, s2, v19
	s_and_saveexec_b64 s[0:1], vcc
	s_cbranch_execz .LBB21_98
.LBB21_113:
	s_waitcnt lgkmcnt(3)
	v_add_co_u32_e32 v9, vcc, 0x1000, v1
	v_addc_co_u32_e32 v10, vcc, 0, v2, vcc
	s_waitcnt lgkmcnt(2)
	global_store_dwordx2 v[9:10], v[7:8], off offset:1024
	s_or_b64 exec, exec, s[0:1]
	v_cmp_gt_u32_e32 vcc, s2, v18
	s_and_saveexec_b64 s[0:1], vcc
	s_cbranch_execnz .LBB21_99
	s_branch .LBB21_100
	.section	.rodata,"a",@progbits
	.p2align	6, 0x0
	.amdhsa_kernel _ZN7rocprim17ROCPRIM_304000_NS6detail35device_block_merge_mergepath_kernelINS1_37wrapped_merge_sort_block_merge_configINS0_14default_configEmN2at4cuda3cub6detail10OpaqueTypeILi8EEEEEPmSC_PSA_SD_jNS1_19radix_merge_compareILb0ELb1EmNS0_19identity_decomposerEEEEEvT0_T1_T2_T3_T4_SL_jT5_PKSL_NS1_7vsmem_tE
		.amdhsa_group_segment_fixed_size 8448
		.amdhsa_private_segment_fixed_size 0
		.amdhsa_kernarg_size 328
		.amdhsa_user_sgpr_count 6
		.amdhsa_user_sgpr_private_segment_buffer 1
		.amdhsa_user_sgpr_dispatch_ptr 0
		.amdhsa_user_sgpr_queue_ptr 0
		.amdhsa_user_sgpr_kernarg_segment_ptr 1
		.amdhsa_user_sgpr_dispatch_id 0
		.amdhsa_user_sgpr_flat_scratch_init 0
		.amdhsa_user_sgpr_private_segment_size 0
		.amdhsa_uses_dynamic_stack 0
		.amdhsa_system_sgpr_private_segment_wavefront_offset 0
		.amdhsa_system_sgpr_workgroup_id_x 1
		.amdhsa_system_sgpr_workgroup_id_y 1
		.amdhsa_system_sgpr_workgroup_id_z 1
		.amdhsa_system_sgpr_workgroup_info 0
		.amdhsa_system_vgpr_workitem_id 0
		.amdhsa_next_free_vgpr 49
		.amdhsa_next_free_sgpr 98
		.amdhsa_reserve_vcc 1
		.amdhsa_reserve_flat_scratch 0
		.amdhsa_float_round_mode_32 0
		.amdhsa_float_round_mode_16_64 0
		.amdhsa_float_denorm_mode_32 3
		.amdhsa_float_denorm_mode_16_64 3
		.amdhsa_dx10_clamp 1
		.amdhsa_ieee_mode 1
		.amdhsa_fp16_overflow 0
		.amdhsa_exception_fp_ieee_invalid_op 0
		.amdhsa_exception_fp_denorm_src 0
		.amdhsa_exception_fp_ieee_div_zero 0
		.amdhsa_exception_fp_ieee_overflow 0
		.amdhsa_exception_fp_ieee_underflow 0
		.amdhsa_exception_fp_ieee_inexact 0
		.amdhsa_exception_int_div_zero 0
	.end_amdhsa_kernel
	.section	.text._ZN7rocprim17ROCPRIM_304000_NS6detail35device_block_merge_mergepath_kernelINS1_37wrapped_merge_sort_block_merge_configINS0_14default_configEmN2at4cuda3cub6detail10OpaqueTypeILi8EEEEEPmSC_PSA_SD_jNS1_19radix_merge_compareILb0ELb1EmNS0_19identity_decomposerEEEEEvT0_T1_T2_T3_T4_SL_jT5_PKSL_NS1_7vsmem_tE,"axG",@progbits,_ZN7rocprim17ROCPRIM_304000_NS6detail35device_block_merge_mergepath_kernelINS1_37wrapped_merge_sort_block_merge_configINS0_14default_configEmN2at4cuda3cub6detail10OpaqueTypeILi8EEEEEPmSC_PSA_SD_jNS1_19radix_merge_compareILb0ELb1EmNS0_19identity_decomposerEEEEEvT0_T1_T2_T3_T4_SL_jT5_PKSL_NS1_7vsmem_tE,comdat
.Lfunc_end21:
	.size	_ZN7rocprim17ROCPRIM_304000_NS6detail35device_block_merge_mergepath_kernelINS1_37wrapped_merge_sort_block_merge_configINS0_14default_configEmN2at4cuda3cub6detail10OpaqueTypeILi8EEEEEPmSC_PSA_SD_jNS1_19radix_merge_compareILb0ELb1EmNS0_19identity_decomposerEEEEEvT0_T1_T2_T3_T4_SL_jT5_PKSL_NS1_7vsmem_tE, .Lfunc_end21-_ZN7rocprim17ROCPRIM_304000_NS6detail35device_block_merge_mergepath_kernelINS1_37wrapped_merge_sort_block_merge_configINS0_14default_configEmN2at4cuda3cub6detail10OpaqueTypeILi8EEEEEPmSC_PSA_SD_jNS1_19radix_merge_compareILb0ELb1EmNS0_19identity_decomposerEEEEEvT0_T1_T2_T3_T4_SL_jT5_PKSL_NS1_7vsmem_tE
                                        ; -- End function
	.set _ZN7rocprim17ROCPRIM_304000_NS6detail35device_block_merge_mergepath_kernelINS1_37wrapped_merge_sort_block_merge_configINS0_14default_configEmN2at4cuda3cub6detail10OpaqueTypeILi8EEEEEPmSC_PSA_SD_jNS1_19radix_merge_compareILb0ELb1EmNS0_19identity_decomposerEEEEEvT0_T1_T2_T3_T4_SL_jT5_PKSL_NS1_7vsmem_tE.num_vgpr, 45
	.set _ZN7rocprim17ROCPRIM_304000_NS6detail35device_block_merge_mergepath_kernelINS1_37wrapped_merge_sort_block_merge_configINS0_14default_configEmN2at4cuda3cub6detail10OpaqueTypeILi8EEEEEPmSC_PSA_SD_jNS1_19radix_merge_compareILb0ELb1EmNS0_19identity_decomposerEEEEEvT0_T1_T2_T3_T4_SL_jT5_PKSL_NS1_7vsmem_tE.num_agpr, 0
	.set _ZN7rocprim17ROCPRIM_304000_NS6detail35device_block_merge_mergepath_kernelINS1_37wrapped_merge_sort_block_merge_configINS0_14default_configEmN2at4cuda3cub6detail10OpaqueTypeILi8EEEEEPmSC_PSA_SD_jNS1_19radix_merge_compareILb0ELb1EmNS0_19identity_decomposerEEEEEvT0_T1_T2_T3_T4_SL_jT5_PKSL_NS1_7vsmem_tE.numbered_sgpr, 36
	.set _ZN7rocprim17ROCPRIM_304000_NS6detail35device_block_merge_mergepath_kernelINS1_37wrapped_merge_sort_block_merge_configINS0_14default_configEmN2at4cuda3cub6detail10OpaqueTypeILi8EEEEEPmSC_PSA_SD_jNS1_19radix_merge_compareILb0ELb1EmNS0_19identity_decomposerEEEEEvT0_T1_T2_T3_T4_SL_jT5_PKSL_NS1_7vsmem_tE.num_named_barrier, 0
	.set _ZN7rocprim17ROCPRIM_304000_NS6detail35device_block_merge_mergepath_kernelINS1_37wrapped_merge_sort_block_merge_configINS0_14default_configEmN2at4cuda3cub6detail10OpaqueTypeILi8EEEEEPmSC_PSA_SD_jNS1_19radix_merge_compareILb0ELb1EmNS0_19identity_decomposerEEEEEvT0_T1_T2_T3_T4_SL_jT5_PKSL_NS1_7vsmem_tE.private_seg_size, 0
	.set _ZN7rocprim17ROCPRIM_304000_NS6detail35device_block_merge_mergepath_kernelINS1_37wrapped_merge_sort_block_merge_configINS0_14default_configEmN2at4cuda3cub6detail10OpaqueTypeILi8EEEEEPmSC_PSA_SD_jNS1_19radix_merge_compareILb0ELb1EmNS0_19identity_decomposerEEEEEvT0_T1_T2_T3_T4_SL_jT5_PKSL_NS1_7vsmem_tE.uses_vcc, 1
	.set _ZN7rocprim17ROCPRIM_304000_NS6detail35device_block_merge_mergepath_kernelINS1_37wrapped_merge_sort_block_merge_configINS0_14default_configEmN2at4cuda3cub6detail10OpaqueTypeILi8EEEEEPmSC_PSA_SD_jNS1_19radix_merge_compareILb0ELb1EmNS0_19identity_decomposerEEEEEvT0_T1_T2_T3_T4_SL_jT5_PKSL_NS1_7vsmem_tE.uses_flat_scratch, 0
	.set _ZN7rocprim17ROCPRIM_304000_NS6detail35device_block_merge_mergepath_kernelINS1_37wrapped_merge_sort_block_merge_configINS0_14default_configEmN2at4cuda3cub6detail10OpaqueTypeILi8EEEEEPmSC_PSA_SD_jNS1_19radix_merge_compareILb0ELb1EmNS0_19identity_decomposerEEEEEvT0_T1_T2_T3_T4_SL_jT5_PKSL_NS1_7vsmem_tE.has_dyn_sized_stack, 0
	.set _ZN7rocprim17ROCPRIM_304000_NS6detail35device_block_merge_mergepath_kernelINS1_37wrapped_merge_sort_block_merge_configINS0_14default_configEmN2at4cuda3cub6detail10OpaqueTypeILi8EEEEEPmSC_PSA_SD_jNS1_19radix_merge_compareILb0ELb1EmNS0_19identity_decomposerEEEEEvT0_T1_T2_T3_T4_SL_jT5_PKSL_NS1_7vsmem_tE.has_recursion, 0
	.set _ZN7rocprim17ROCPRIM_304000_NS6detail35device_block_merge_mergepath_kernelINS1_37wrapped_merge_sort_block_merge_configINS0_14default_configEmN2at4cuda3cub6detail10OpaqueTypeILi8EEEEEPmSC_PSA_SD_jNS1_19radix_merge_compareILb0ELb1EmNS0_19identity_decomposerEEEEEvT0_T1_T2_T3_T4_SL_jT5_PKSL_NS1_7vsmem_tE.has_indirect_call, 0
	.section	.AMDGPU.csdata,"",@progbits
; Kernel info:
; codeLenInByte = 6412
; TotalNumSgprs: 40
; NumVgprs: 45
; ScratchSize: 0
; MemoryBound: 1
; FloatMode: 240
; IeeeMode: 1
; LDSByteSize: 8448 bytes/workgroup (compile time only)
; SGPRBlocks: 12
; VGPRBlocks: 12
; NumSGPRsForWavesPerEU: 102
; NumVGPRsForWavesPerEU: 49
; Occupancy: 4
; WaveLimiterHint : 1
; COMPUTE_PGM_RSRC2:SCRATCH_EN: 0
; COMPUTE_PGM_RSRC2:USER_SGPR: 6
; COMPUTE_PGM_RSRC2:TRAP_HANDLER: 0
; COMPUTE_PGM_RSRC2:TGID_X_EN: 1
; COMPUTE_PGM_RSRC2:TGID_Y_EN: 1
; COMPUTE_PGM_RSRC2:TGID_Z_EN: 1
; COMPUTE_PGM_RSRC2:TIDIG_COMP_CNT: 0
	.section	.text._ZN7rocprim17ROCPRIM_304000_NS6detail33device_block_merge_oddeven_kernelINS1_37wrapped_merge_sort_block_merge_configINS0_14default_configEmN2at4cuda3cub6detail10OpaqueTypeILi8EEEEEPmSC_PSA_SD_jNS1_19radix_merge_compareILb0ELb1EmNS0_19identity_decomposerEEEEEvT0_T1_T2_T3_T4_SL_T5_,"axG",@progbits,_ZN7rocprim17ROCPRIM_304000_NS6detail33device_block_merge_oddeven_kernelINS1_37wrapped_merge_sort_block_merge_configINS0_14default_configEmN2at4cuda3cub6detail10OpaqueTypeILi8EEEEEPmSC_PSA_SD_jNS1_19radix_merge_compareILb0ELb1EmNS0_19identity_decomposerEEEEEvT0_T1_T2_T3_T4_SL_T5_,comdat
	.protected	_ZN7rocprim17ROCPRIM_304000_NS6detail33device_block_merge_oddeven_kernelINS1_37wrapped_merge_sort_block_merge_configINS0_14default_configEmN2at4cuda3cub6detail10OpaqueTypeILi8EEEEEPmSC_PSA_SD_jNS1_19radix_merge_compareILb0ELb1EmNS0_19identity_decomposerEEEEEvT0_T1_T2_T3_T4_SL_T5_ ; -- Begin function _ZN7rocprim17ROCPRIM_304000_NS6detail33device_block_merge_oddeven_kernelINS1_37wrapped_merge_sort_block_merge_configINS0_14default_configEmN2at4cuda3cub6detail10OpaqueTypeILi8EEEEEPmSC_PSA_SD_jNS1_19radix_merge_compareILb0ELb1EmNS0_19identity_decomposerEEEEEvT0_T1_T2_T3_T4_SL_T5_
	.globl	_ZN7rocprim17ROCPRIM_304000_NS6detail33device_block_merge_oddeven_kernelINS1_37wrapped_merge_sort_block_merge_configINS0_14default_configEmN2at4cuda3cub6detail10OpaqueTypeILi8EEEEEPmSC_PSA_SD_jNS1_19radix_merge_compareILb0ELb1EmNS0_19identity_decomposerEEEEEvT0_T1_T2_T3_T4_SL_T5_
	.p2align	8
	.type	_ZN7rocprim17ROCPRIM_304000_NS6detail33device_block_merge_oddeven_kernelINS1_37wrapped_merge_sort_block_merge_configINS0_14default_configEmN2at4cuda3cub6detail10OpaqueTypeILi8EEEEEPmSC_PSA_SD_jNS1_19radix_merge_compareILb0ELb1EmNS0_19identity_decomposerEEEEEvT0_T1_T2_T3_T4_SL_T5_,@function
_ZN7rocprim17ROCPRIM_304000_NS6detail33device_block_merge_oddeven_kernelINS1_37wrapped_merge_sort_block_merge_configINS0_14default_configEmN2at4cuda3cub6detail10OpaqueTypeILi8EEEEEPmSC_PSA_SD_jNS1_19radix_merge_compareILb0ELb1EmNS0_19identity_decomposerEEEEEvT0_T1_T2_T3_T4_SL_T5_: ; @_ZN7rocprim17ROCPRIM_304000_NS6detail33device_block_merge_oddeven_kernelINS1_37wrapped_merge_sort_block_merge_configINS0_14default_configEmN2at4cuda3cub6detail10OpaqueTypeILi8EEEEEPmSC_PSA_SD_jNS1_19radix_merge_compareILb0ELb1EmNS0_19identity_decomposerEEEEEvT0_T1_T2_T3_T4_SL_T5_
; %bb.0:
	s_load_dwordx2 s[18:19], s[4:5], 0x20
	s_waitcnt lgkmcnt(0)
	s_lshr_b32 s0, s18, 8
	s_cmp_eq_u32 s6, s0
	s_cselect_b64 s[16:17], -1, 0
	s_cmp_lg_u32 s6, s0
	s_cselect_b64 s[0:1], -1, 0
	s_lshl_b32 s20, s6, 8
	s_sub_i32 s2, s18, s20
	v_cmp_gt_u32_e64 s[2:3], s2, v0
	s_or_b64 s[0:1], s[0:1], s[2:3]
	s_and_saveexec_b64 s[8:9], s[0:1]
	s_cbranch_execz .LBB22_24
; %bb.1:
	s_load_dwordx8 s[8:15], s[4:5], 0x0
	s_mov_b32 s21, 0
	s_lshl_b64 s[0:1], s[20:21], 3
	v_lshlrev_b32_e32 v5, 3, v0
	s_waitcnt lgkmcnt(0)
	s_add_u32 s22, s8, s0
	s_addc_u32 s23, s9, s1
	s_add_u32 s0, s12, s0
	s_addc_u32 s1, s13, s1
	global_load_dwordx2 v[1:2], v5, s[0:1]
	global_load_dwordx2 v[3:4], v5, s[22:23]
	s_lshr_b32 s0, s19, 8
	s_sub_i32 s1, 0, s0
	s_and_b32 s1, s6, s1
	s_and_b32 s0, s1, s0
	s_lshl_b32 s21, s1, 8
	s_sub_i32 s12, 0, s19
	s_cmp_eq_u32 s0, 0
	s_cselect_b64 s[0:1], -1, 0
	s_and_b64 s[6:7], s[0:1], exec
	s_cselect_b32 s12, s19, s12
	s_add_i32 s12, s12, s21
	s_mov_b64 s[6:7], -1
	s_cmp_gt_u32 s18, s12
	v_add_u32_e32 v5, s20, v0
	s_cbranch_scc1 .LBB22_9
; %bb.2:
	s_and_b64 vcc, exec, s[16:17]
	s_cbranch_vccz .LBB22_6
; %bb.3:
	v_cmp_gt_u32_e32 vcc, s18, v5
	s_and_saveexec_b64 s[6:7], vcc
	s_cbranch_execz .LBB22_5
; %bb.4:
	v_mov_b32_e32 v6, 0
	v_lshlrev_b64 v[6:7], 3, v[5:6]
	v_mov_b32_e32 v0, s15
	v_add_co_u32_e32 v8, vcc, s14, v6
	v_addc_co_u32_e32 v9, vcc, v0, v7, vcc
	v_mov_b32_e32 v0, s11
	v_add_co_u32_e32 v6, vcc, s10, v6
	v_addc_co_u32_e32 v7, vcc, v0, v7, vcc
	s_waitcnt vmcnt(0)
	global_store_dwordx2 v[6:7], v[3:4], off
	global_store_dwordx2 v[8:9], v[1:2], off
.LBB22_5:
	s_or_b64 exec, exec, s[6:7]
	s_mov_b64 s[6:7], 0
.LBB22_6:
	s_andn2_b64 vcc, exec, s[6:7]
	s_cbranch_vccnz .LBB22_8
; %bb.7:
	v_mov_b32_e32 v6, 0
	v_lshlrev_b64 v[6:7], 3, v[5:6]
	v_mov_b32_e32 v0, s11
	v_add_co_u32_e32 v8, vcc, s10, v6
	v_addc_co_u32_e32 v9, vcc, v0, v7, vcc
	v_mov_b32_e32 v0, s15
	v_add_co_u32_e32 v6, vcc, s14, v6
	v_addc_co_u32_e32 v7, vcc, v0, v7, vcc
	s_waitcnt vmcnt(0)
	global_store_dwordx2 v[8:9], v[3:4], off
	global_store_dwordx2 v[6:7], v[1:2], off
.LBB22_8:
	s_mov_b64 s[6:7], 0
.LBB22_9:
	s_andn2_b64 vcc, exec, s[6:7]
	s_cbranch_vccnz .LBB22_24
; %bb.10:
	s_load_dwordx2 s[4:5], s[4:5], 0x28
	s_min_u32 s13, s12, s18
	s_add_i32 s6, s13, s19
	s_min_u32 s18, s6, s18
	s_min_u32 s6, s21, s13
	s_add_i32 s21, s21, s13
	v_subrev_u32_e32 v0, s21, v5
	v_add_u32_e32 v0, s6, v0
	s_waitcnt vmcnt(0) lgkmcnt(0)
	v_and_b32_e32 v6, s5, v4
	v_and_b32_e32 v5, s4, v3
	s_mov_b64 s[6:7], -1
	s_and_b64 vcc, exec, s[16:17]
	s_cbranch_vccz .LBB22_18
; %bb.11:
	s_and_saveexec_b64 s[6:7], s[2:3]
	s_cbranch_execz .LBB22_17
; %bb.12:
	s_cmp_ge_u32 s12, s18
	v_mov_b32_e32 v9, s13
	s_cbranch_scc1 .LBB22_16
; %bb.13:
	s_mov_b64 s[2:3], 0
	v_mov_b32_e32 v10, s18
	v_mov_b32_e32 v9, s13
	;; [unrolled: 1-line block ×4, first 2 shown]
.LBB22_14:                              ; =>This Inner Loop Header: Depth=1
	v_add_u32_e32 v7, v9, v10
	v_lshrrev_b32_e32 v7, 1, v7
	v_lshlrev_b64 v[12:13], 3, v[7:8]
	v_add_u32_e32 v14, 1, v7
	v_add_co_u32_e32 v12, vcc, s8, v12
	v_addc_co_u32_e32 v13, vcc, v11, v13, vcc
	global_load_dwordx2 v[12:13], v[12:13], off
	s_waitcnt vmcnt(0)
	v_and_b32_e32 v13, s5, v13
	v_and_b32_e32 v12, s4, v12
	v_cmp_gt_u64_e32 vcc, v[5:6], v[12:13]
	v_cndmask_b32_e64 v15, 0, 1, vcc
	v_cmp_le_u64_e32 vcc, v[12:13], v[5:6]
	v_cndmask_b32_e64 v12, 0, 1, vcc
	v_cndmask_b32_e64 v12, v12, v15, s[0:1]
	v_and_b32_e32 v12, 1, v12
	v_cmp_eq_u32_e32 vcc, 1, v12
	v_cndmask_b32_e32 v10, v7, v10, vcc
	v_cndmask_b32_e32 v9, v9, v14, vcc
	v_cmp_ge_u32_e32 vcc, v9, v10
	s_or_b64 s[2:3], vcc, s[2:3]
	s_andn2_b64 exec, exec, s[2:3]
	s_cbranch_execnz .LBB22_14
; %bb.15:
	s_or_b64 exec, exec, s[2:3]
.LBB22_16:
	v_add_u32_e32 v7, v9, v0
	v_mov_b32_e32 v8, 0
	v_lshlrev_b64 v[7:8], 3, v[7:8]
	v_mov_b32_e32 v10, s11
	v_add_co_u32_e32 v9, vcc, s10, v7
	v_addc_co_u32_e32 v10, vcc, v10, v8, vcc
	global_store_dwordx2 v[9:10], v[3:4], off
	v_mov_b32_e32 v9, s15
	v_add_co_u32_e32 v7, vcc, s14, v7
	v_addc_co_u32_e32 v8, vcc, v9, v8, vcc
	global_store_dwordx2 v[7:8], v[1:2], off
.LBB22_17:
	s_or_b64 exec, exec, s[6:7]
	s_mov_b64 s[6:7], 0
.LBB22_18:
	s_andn2_b64 vcc, exec, s[6:7]
	s_cbranch_vccnz .LBB22_24
; %bb.19:
	s_cmp_ge_u32 s12, s18
	v_mov_b32_e32 v9, s13
	s_cbranch_scc1 .LBB22_23
; %bb.20:
	s_mov_b64 s[2:3], 0
	v_mov_b32_e32 v10, s18
	v_mov_b32_e32 v9, s13
	;; [unrolled: 1-line block ×4, first 2 shown]
.LBB22_21:                              ; =>This Inner Loop Header: Depth=1
	v_add_u32_e32 v7, v9, v10
	v_lshrrev_b32_e32 v7, 1, v7
	v_lshlrev_b64 v[12:13], 3, v[7:8]
	v_add_u32_e32 v14, 1, v7
	v_add_co_u32_e32 v12, vcc, s8, v12
	v_addc_co_u32_e32 v13, vcc, v11, v13, vcc
	global_load_dwordx2 v[12:13], v[12:13], off
	s_waitcnt vmcnt(0)
	v_and_b32_e32 v13, s5, v13
	v_and_b32_e32 v12, s4, v12
	v_cmp_gt_u64_e32 vcc, v[5:6], v[12:13]
	v_cndmask_b32_e64 v15, 0, 1, vcc
	v_cmp_le_u64_e32 vcc, v[12:13], v[5:6]
	v_cndmask_b32_e64 v12, 0, 1, vcc
	v_cndmask_b32_e64 v12, v12, v15, s[0:1]
	v_and_b32_e32 v12, 1, v12
	v_cmp_eq_u32_e32 vcc, 1, v12
	v_cndmask_b32_e32 v10, v7, v10, vcc
	v_cndmask_b32_e32 v9, v9, v14, vcc
	v_cmp_ge_u32_e32 vcc, v9, v10
	s_or_b64 s[2:3], vcc, s[2:3]
	s_andn2_b64 exec, exec, s[2:3]
	s_cbranch_execnz .LBB22_21
; %bb.22:
	s_or_b64 exec, exec, s[2:3]
.LBB22_23:
	v_add_u32_e32 v5, v9, v0
	v_mov_b32_e32 v6, 0
	v_lshlrev_b64 v[5:6], 3, v[5:6]
	v_mov_b32_e32 v0, s11
	v_add_co_u32_e32 v7, vcc, s10, v5
	v_addc_co_u32_e32 v8, vcc, v0, v6, vcc
	global_store_dwordx2 v[7:8], v[3:4], off
	v_mov_b32_e32 v0, s15
	v_add_co_u32_e32 v3, vcc, s14, v5
	v_addc_co_u32_e32 v4, vcc, v0, v6, vcc
	global_store_dwordx2 v[3:4], v[1:2], off
.LBB22_24:
	s_endpgm
	.section	.rodata,"a",@progbits
	.p2align	6, 0x0
	.amdhsa_kernel _ZN7rocprim17ROCPRIM_304000_NS6detail33device_block_merge_oddeven_kernelINS1_37wrapped_merge_sort_block_merge_configINS0_14default_configEmN2at4cuda3cub6detail10OpaqueTypeILi8EEEEEPmSC_PSA_SD_jNS1_19radix_merge_compareILb0ELb1EmNS0_19identity_decomposerEEEEEvT0_T1_T2_T3_T4_SL_T5_
		.amdhsa_group_segment_fixed_size 0
		.amdhsa_private_segment_fixed_size 0
		.amdhsa_kernarg_size 48
		.amdhsa_user_sgpr_count 6
		.amdhsa_user_sgpr_private_segment_buffer 1
		.amdhsa_user_sgpr_dispatch_ptr 0
		.amdhsa_user_sgpr_queue_ptr 0
		.amdhsa_user_sgpr_kernarg_segment_ptr 1
		.amdhsa_user_sgpr_dispatch_id 0
		.amdhsa_user_sgpr_flat_scratch_init 0
		.amdhsa_user_sgpr_private_segment_size 0
		.amdhsa_uses_dynamic_stack 0
		.amdhsa_system_sgpr_private_segment_wavefront_offset 0
		.amdhsa_system_sgpr_workgroup_id_x 1
		.amdhsa_system_sgpr_workgroup_id_y 0
		.amdhsa_system_sgpr_workgroup_id_z 0
		.amdhsa_system_sgpr_workgroup_info 0
		.amdhsa_system_vgpr_workitem_id 0
		.amdhsa_next_free_vgpr 16
		.amdhsa_next_free_sgpr 24
		.amdhsa_reserve_vcc 1
		.amdhsa_reserve_flat_scratch 0
		.amdhsa_float_round_mode_32 0
		.amdhsa_float_round_mode_16_64 0
		.amdhsa_float_denorm_mode_32 3
		.amdhsa_float_denorm_mode_16_64 3
		.amdhsa_dx10_clamp 1
		.amdhsa_ieee_mode 1
		.amdhsa_fp16_overflow 0
		.amdhsa_exception_fp_ieee_invalid_op 0
		.amdhsa_exception_fp_denorm_src 0
		.amdhsa_exception_fp_ieee_div_zero 0
		.amdhsa_exception_fp_ieee_overflow 0
		.amdhsa_exception_fp_ieee_underflow 0
		.amdhsa_exception_fp_ieee_inexact 0
		.amdhsa_exception_int_div_zero 0
	.end_amdhsa_kernel
	.section	.text._ZN7rocprim17ROCPRIM_304000_NS6detail33device_block_merge_oddeven_kernelINS1_37wrapped_merge_sort_block_merge_configINS0_14default_configEmN2at4cuda3cub6detail10OpaqueTypeILi8EEEEEPmSC_PSA_SD_jNS1_19radix_merge_compareILb0ELb1EmNS0_19identity_decomposerEEEEEvT0_T1_T2_T3_T4_SL_T5_,"axG",@progbits,_ZN7rocprim17ROCPRIM_304000_NS6detail33device_block_merge_oddeven_kernelINS1_37wrapped_merge_sort_block_merge_configINS0_14default_configEmN2at4cuda3cub6detail10OpaqueTypeILi8EEEEEPmSC_PSA_SD_jNS1_19radix_merge_compareILb0ELb1EmNS0_19identity_decomposerEEEEEvT0_T1_T2_T3_T4_SL_T5_,comdat
.Lfunc_end22:
	.size	_ZN7rocprim17ROCPRIM_304000_NS6detail33device_block_merge_oddeven_kernelINS1_37wrapped_merge_sort_block_merge_configINS0_14default_configEmN2at4cuda3cub6detail10OpaqueTypeILi8EEEEEPmSC_PSA_SD_jNS1_19radix_merge_compareILb0ELb1EmNS0_19identity_decomposerEEEEEvT0_T1_T2_T3_T4_SL_T5_, .Lfunc_end22-_ZN7rocprim17ROCPRIM_304000_NS6detail33device_block_merge_oddeven_kernelINS1_37wrapped_merge_sort_block_merge_configINS0_14default_configEmN2at4cuda3cub6detail10OpaqueTypeILi8EEEEEPmSC_PSA_SD_jNS1_19radix_merge_compareILb0ELb1EmNS0_19identity_decomposerEEEEEvT0_T1_T2_T3_T4_SL_T5_
                                        ; -- End function
	.set _ZN7rocprim17ROCPRIM_304000_NS6detail33device_block_merge_oddeven_kernelINS1_37wrapped_merge_sort_block_merge_configINS0_14default_configEmN2at4cuda3cub6detail10OpaqueTypeILi8EEEEEPmSC_PSA_SD_jNS1_19radix_merge_compareILb0ELb1EmNS0_19identity_decomposerEEEEEvT0_T1_T2_T3_T4_SL_T5_.num_vgpr, 16
	.set _ZN7rocprim17ROCPRIM_304000_NS6detail33device_block_merge_oddeven_kernelINS1_37wrapped_merge_sort_block_merge_configINS0_14default_configEmN2at4cuda3cub6detail10OpaqueTypeILi8EEEEEPmSC_PSA_SD_jNS1_19radix_merge_compareILb0ELb1EmNS0_19identity_decomposerEEEEEvT0_T1_T2_T3_T4_SL_T5_.num_agpr, 0
	.set _ZN7rocprim17ROCPRIM_304000_NS6detail33device_block_merge_oddeven_kernelINS1_37wrapped_merge_sort_block_merge_configINS0_14default_configEmN2at4cuda3cub6detail10OpaqueTypeILi8EEEEEPmSC_PSA_SD_jNS1_19radix_merge_compareILb0ELb1EmNS0_19identity_decomposerEEEEEvT0_T1_T2_T3_T4_SL_T5_.numbered_sgpr, 24
	.set _ZN7rocprim17ROCPRIM_304000_NS6detail33device_block_merge_oddeven_kernelINS1_37wrapped_merge_sort_block_merge_configINS0_14default_configEmN2at4cuda3cub6detail10OpaqueTypeILi8EEEEEPmSC_PSA_SD_jNS1_19radix_merge_compareILb0ELb1EmNS0_19identity_decomposerEEEEEvT0_T1_T2_T3_T4_SL_T5_.num_named_barrier, 0
	.set _ZN7rocprim17ROCPRIM_304000_NS6detail33device_block_merge_oddeven_kernelINS1_37wrapped_merge_sort_block_merge_configINS0_14default_configEmN2at4cuda3cub6detail10OpaqueTypeILi8EEEEEPmSC_PSA_SD_jNS1_19radix_merge_compareILb0ELb1EmNS0_19identity_decomposerEEEEEvT0_T1_T2_T3_T4_SL_T5_.private_seg_size, 0
	.set _ZN7rocprim17ROCPRIM_304000_NS6detail33device_block_merge_oddeven_kernelINS1_37wrapped_merge_sort_block_merge_configINS0_14default_configEmN2at4cuda3cub6detail10OpaqueTypeILi8EEEEEPmSC_PSA_SD_jNS1_19radix_merge_compareILb0ELb1EmNS0_19identity_decomposerEEEEEvT0_T1_T2_T3_T4_SL_T5_.uses_vcc, 1
	.set _ZN7rocprim17ROCPRIM_304000_NS6detail33device_block_merge_oddeven_kernelINS1_37wrapped_merge_sort_block_merge_configINS0_14default_configEmN2at4cuda3cub6detail10OpaqueTypeILi8EEEEEPmSC_PSA_SD_jNS1_19radix_merge_compareILb0ELb1EmNS0_19identity_decomposerEEEEEvT0_T1_T2_T3_T4_SL_T5_.uses_flat_scratch, 0
	.set _ZN7rocprim17ROCPRIM_304000_NS6detail33device_block_merge_oddeven_kernelINS1_37wrapped_merge_sort_block_merge_configINS0_14default_configEmN2at4cuda3cub6detail10OpaqueTypeILi8EEEEEPmSC_PSA_SD_jNS1_19radix_merge_compareILb0ELb1EmNS0_19identity_decomposerEEEEEvT0_T1_T2_T3_T4_SL_T5_.has_dyn_sized_stack, 0
	.set _ZN7rocprim17ROCPRIM_304000_NS6detail33device_block_merge_oddeven_kernelINS1_37wrapped_merge_sort_block_merge_configINS0_14default_configEmN2at4cuda3cub6detail10OpaqueTypeILi8EEEEEPmSC_PSA_SD_jNS1_19radix_merge_compareILb0ELb1EmNS0_19identity_decomposerEEEEEvT0_T1_T2_T3_T4_SL_T5_.has_recursion, 0
	.set _ZN7rocprim17ROCPRIM_304000_NS6detail33device_block_merge_oddeven_kernelINS1_37wrapped_merge_sort_block_merge_configINS0_14default_configEmN2at4cuda3cub6detail10OpaqueTypeILi8EEEEEPmSC_PSA_SD_jNS1_19radix_merge_compareILb0ELb1EmNS0_19identity_decomposerEEEEEvT0_T1_T2_T3_T4_SL_T5_.has_indirect_call, 0
	.section	.AMDGPU.csdata,"",@progbits
; Kernel info:
; codeLenInByte = 832
; TotalNumSgprs: 28
; NumVgprs: 16
; ScratchSize: 0
; MemoryBound: 0
; FloatMode: 240
; IeeeMode: 1
; LDSByteSize: 0 bytes/workgroup (compile time only)
; SGPRBlocks: 3
; VGPRBlocks: 3
; NumSGPRsForWavesPerEU: 28
; NumVGPRsForWavesPerEU: 16
; Occupancy: 10
; WaveLimiterHint : 0
; COMPUTE_PGM_RSRC2:SCRATCH_EN: 0
; COMPUTE_PGM_RSRC2:USER_SGPR: 6
; COMPUTE_PGM_RSRC2:TRAP_HANDLER: 0
; COMPUTE_PGM_RSRC2:TGID_X_EN: 1
; COMPUTE_PGM_RSRC2:TGID_Y_EN: 0
; COMPUTE_PGM_RSRC2:TGID_Z_EN: 0
; COMPUTE_PGM_RSRC2:TIDIG_COMP_CNT: 0
	.section	.text._ZN7rocprim17ROCPRIM_304000_NS6detail26onesweep_histograms_kernelINS1_34wrapped_radix_sort_onesweep_configINS0_14default_configEmN2at4cuda3cub6detail10OpaqueTypeILi8EEEEELb0EPKmmNS0_19identity_decomposerEEEvT1_PT2_SG_SG_T3_jj,"axG",@progbits,_ZN7rocprim17ROCPRIM_304000_NS6detail26onesweep_histograms_kernelINS1_34wrapped_radix_sort_onesweep_configINS0_14default_configEmN2at4cuda3cub6detail10OpaqueTypeILi8EEEEELb0EPKmmNS0_19identity_decomposerEEEvT1_PT2_SG_SG_T3_jj,comdat
	.protected	_ZN7rocprim17ROCPRIM_304000_NS6detail26onesweep_histograms_kernelINS1_34wrapped_radix_sort_onesweep_configINS0_14default_configEmN2at4cuda3cub6detail10OpaqueTypeILi8EEEEELb0EPKmmNS0_19identity_decomposerEEEvT1_PT2_SG_SG_T3_jj ; -- Begin function _ZN7rocprim17ROCPRIM_304000_NS6detail26onesweep_histograms_kernelINS1_34wrapped_radix_sort_onesweep_configINS0_14default_configEmN2at4cuda3cub6detail10OpaqueTypeILi8EEEEELb0EPKmmNS0_19identity_decomposerEEEvT1_PT2_SG_SG_T3_jj
	.globl	_ZN7rocprim17ROCPRIM_304000_NS6detail26onesweep_histograms_kernelINS1_34wrapped_radix_sort_onesweep_configINS0_14default_configEmN2at4cuda3cub6detail10OpaqueTypeILi8EEEEELb0EPKmmNS0_19identity_decomposerEEEvT1_PT2_SG_SG_T3_jj
	.p2align	8
	.type	_ZN7rocprim17ROCPRIM_304000_NS6detail26onesweep_histograms_kernelINS1_34wrapped_radix_sort_onesweep_configINS0_14default_configEmN2at4cuda3cub6detail10OpaqueTypeILi8EEEEELb0EPKmmNS0_19identity_decomposerEEEvT1_PT2_SG_SG_T3_jj,@function
_ZN7rocprim17ROCPRIM_304000_NS6detail26onesweep_histograms_kernelINS1_34wrapped_radix_sort_onesweep_configINS0_14default_configEmN2at4cuda3cub6detail10OpaqueTypeILi8EEEEELb0EPKmmNS0_19identity_decomposerEEEvT1_PT2_SG_SG_T3_jj: ; @_ZN7rocprim17ROCPRIM_304000_NS6detail26onesweep_histograms_kernelINS1_34wrapped_radix_sort_onesweep_configINS0_14default_configEmN2at4cuda3cub6detail10OpaqueTypeILi8EEEEELb0EPKmmNS0_19identity_decomposerEEEvT1_PT2_SG_SG_T3_jj
; %bb.0:
	s_load_dwordx8 s[12:19], s[4:5], 0x0
	s_load_dwordx2 s[20:21], s[4:5], 0x24
	v_mov_b32_e32 v1, s6
	v_mov_b32_e32 v2, 0
	s_mul_hi_u32 s0, s6, 0x6000
	s_waitcnt lgkmcnt(0)
	v_cmp_le_u64_e32 vcc, s[18:19], v[1:2]
	s_mulk_i32 s6, 0x6000
	s_add_u32 s12, s12, s6
	s_addc_u32 s13, s13, s0
	s_mov_b64 s[0:1], -1
	v_lshlrev_b32_e32 v15, 3, v0
	s_cbranch_vccz .LBB23_46
; %bb.1:
	s_mul_i32 s0, s18, 0xfffff400
	s_add_i32 s16, s0, s16
	v_mov_b32_e32 v1, s13
	v_add_co_u32_e32 v13, vcc, s12, v15
	v_addc_co_u32_e32 v14, vcc, 0, v1, vcc
	v_cmp_gt_u32_e64 s[10:11], s16, v0
                                        ; implicit-def: $vgpr11_vgpr12
	s_and_saveexec_b64 s[0:1], s[10:11]
	s_cbranch_execz .LBB23_3
; %bb.2:
	global_load_dwordx2 v[11:12], v[13:14], off
.LBB23_3:
	s_or_b64 exec, exec, s[0:1]
	v_or_b32_e32 v1, 0x200, v0
	v_cmp_gt_u32_e64 s[8:9], s16, v1
                                        ; implicit-def: $vgpr9_vgpr10
	s_and_saveexec_b64 s[0:1], s[8:9]
	s_cbranch_execz .LBB23_5
; %bb.4:
	v_add_co_u32_e32 v1, vcc, 0x1000, v13
	v_addc_co_u32_e32 v2, vcc, 0, v14, vcc
	global_load_dwordx2 v[9:10], v[1:2], off
.LBB23_5:
	s_or_b64 exec, exec, s[0:1]
	v_or_b32_e32 v1, 0x400, v0
	v_cmp_gt_u32_e64 s[6:7], s16, v1
                                        ; implicit-def: $vgpr7_vgpr8
	s_and_saveexec_b64 s[0:1], s[6:7]
	s_cbranch_execz .LBB23_7
; %bb.6:
	v_add_co_u32_e32 v1, vcc, 0x2000, v13
	v_addc_co_u32_e32 v2, vcc, 0, v14, vcc
	global_load_dwordx2 v[7:8], v[1:2], off
.LBB23_7:
	s_or_b64 exec, exec, s[0:1]
	v_or_b32_e32 v1, 0x600, v0
	v_cmp_gt_u32_e64 s[4:5], s16, v1
                                        ; implicit-def: $vgpr5_vgpr6
	s_and_saveexec_b64 s[0:1], s[4:5]
	s_cbranch_execz .LBB23_9
; %bb.8:
	v_add_co_u32_e32 v1, vcc, 0x3000, v13
	v_addc_co_u32_e32 v2, vcc, 0, v14, vcc
	global_load_dwordx2 v[5:6], v[1:2], off
.LBB23_9:
	s_or_b64 exec, exec, s[0:1]
	v_or_b32_e32 v1, 0x800, v0
	v_cmp_gt_u32_e64 s[2:3], s16, v1
                                        ; implicit-def: $vgpr3_vgpr4
	s_and_saveexec_b64 s[0:1], s[2:3]
	s_cbranch_execz .LBB23_11
; %bb.10:
	v_add_co_u32_e32 v1, vcc, 0x4000, v13
	v_addc_co_u32_e32 v2, vcc, 0, v14, vcc
	global_load_dwordx2 v[3:4], v[1:2], off
.LBB23_11:
	s_or_b64 exec, exec, s[0:1]
	v_or_b32_e32 v1, 0xa00, v0
	v_cmp_gt_u32_e64 s[0:1], s16, v1
                                        ; implicit-def: $vgpr1_vgpr2
	s_and_saveexec_b64 s[16:17], s[0:1]
	s_cbranch_execz .LBB23_13
; %bb.12:
	v_add_co_u32_e32 v1, vcc, 0x5000, v13
	v_addc_co_u32_e32 v2, vcc, 0, v14, vcc
	global_load_dwordx2 v[1:2], v[1:2], off
.LBB23_13:
	s_or_b64 exec, exec, s[16:17]
	v_or_b32_e32 v13, 0xfffffe00, v0
	v_lshlrev_b32_e32 v14, 2, v0
	s_mov_b64 s[16:17], 0
	v_mov_b32_e32 v16, 0
	s_movk_i32 s18, 0x1dff
.LBB23_14:                              ; =>This Inner Loop Header: Depth=1
	v_add_u32_e32 v13, 0x200, v13
	v_cmp_lt_u32_e32 vcc, s18, v13
	ds_write_b32 v14, v16
	s_or_b64 s[16:17], vcc, s[16:17]
	v_add_u32_e32 v14, 0x800, v14
	s_andn2_b64 exec, exec, s[16:17]
	s_cbranch_execnz .LBB23_14
; %bb.15:
	s_or_b64 exec, exec, s[16:17]
	s_cmp_gt_u32 s21, s20
	s_cselect_b64 s[16:17], -1, 0
	s_cmp_le_u32 s21, s20
	s_waitcnt vmcnt(0) lgkmcnt(0)
	s_barrier
	s_cbranch_scc1 .LBB23_40
; %bb.16:
	v_and_b32_e32 v13, 3, v0
	v_lshlrev_b32_e32 v13, 2, v13
	s_sub_i32 s22, s21, s20
	v_mov_b32_e32 v14, 1
	s_mov_b32 s23, s22
	v_mov_b32_e32 v16, v13
	s_mov_b32 s24, s20
	s_branch .LBB23_18
.LBB23_17:                              ;   in Loop: Header=BB23_18 Depth=1
	s_or_b64 exec, exec, s[18:19]
	s_add_i32 s24, s24, 8
	s_add_i32 s23, s23, -8
	s_cmp_lt_u32 s24, s21
	v_add_u32_e32 v16, 0x1000, v16
	s_cbranch_scc0 .LBB23_20
.LBB23_18:                              ; =>This Inner Loop Header: Depth=1
	s_and_saveexec_b64 s[18:19], s[10:11]
	s_cbranch_execz .LBB23_17
; %bb.19:                               ;   in Loop: Header=BB23_18 Depth=1
	v_lshrrev_b64 v[17:18], s24, v[11:12]
	s_min_u32 s25, s23, 8
	v_bfe_u32 v17, v17, 0, s25
	v_lshl_add_u32 v17, v17, 4, v16
	ds_add_u32 v17, v14
	s_branch .LBB23_17
.LBB23_20:
	v_mov_b32_e32 v11, 1
	s_mov_b32 s18, s22
	v_mov_b32_e32 v12, v13
	s_mov_b32 s19, s20
	s_branch .LBB23_22
.LBB23_21:                              ;   in Loop: Header=BB23_22 Depth=1
	s_or_b64 exec, exec, s[10:11]
	s_add_i32 s19, s19, 8
	s_add_i32 s18, s18, -8
	s_cmp_lt_u32 s19, s21
	v_add_u32_e32 v12, 0x1000, v12
	s_cbranch_scc0 .LBB23_24
.LBB23_22:                              ; =>This Inner Loop Header: Depth=1
	s_and_saveexec_b64 s[10:11], s[8:9]
	s_cbranch_execz .LBB23_21
; %bb.23:                               ;   in Loop: Header=BB23_22 Depth=1
	v_lshrrev_b64 v[16:17], s19, v[9:10]
	s_min_u32 s23, s18, 8
	v_bfe_u32 v14, v16, 0, s23
	v_lshl_add_u32 v14, v14, 4, v12
	ds_add_u32 v14, v11
	s_branch .LBB23_21
.LBB23_24:
	v_mov_b32_e32 v9, 1
	s_mov_b32 s10, s22
	v_mov_b32_e32 v10, v13
	s_mov_b32 s11, s20
	s_branch .LBB23_26
.LBB23_25:                              ;   in Loop: Header=BB23_26 Depth=1
	s_or_b64 exec, exec, s[8:9]
	s_add_i32 s11, s11, 8
	s_add_i32 s10, s10, -8
	s_cmp_lt_u32 s11, s21
	v_add_u32_e32 v10, 0x1000, v10
	s_cbranch_scc0 .LBB23_28
.LBB23_26:                              ; =>This Inner Loop Header: Depth=1
	s_and_saveexec_b64 s[8:9], s[6:7]
	s_cbranch_execz .LBB23_25
; %bb.27:                               ;   in Loop: Header=BB23_26 Depth=1
	v_lshrrev_b64 v[11:12], s11, v[7:8]
	s_min_u32 s18, s10, 8
	v_bfe_u32 v11, v11, 0, s18
	v_lshl_add_u32 v11, v11, 4, v10
	ds_add_u32 v11, v9
	s_branch .LBB23_25
.LBB23_28:
	v_mov_b32_e32 v7, 1
	s_mov_b32 s8, s22
	v_mov_b32_e32 v8, v13
	s_mov_b32 s9, s20
	s_branch .LBB23_30
.LBB23_29:                              ;   in Loop: Header=BB23_30 Depth=1
	s_or_b64 exec, exec, s[6:7]
	s_add_i32 s9, s9, 8
	s_add_i32 s8, s8, -8
	s_cmp_lt_u32 s9, s21
	v_add_u32_e32 v8, 0x1000, v8
	s_cbranch_scc0 .LBB23_32
.LBB23_30:                              ; =>This Inner Loop Header: Depth=1
	s_and_saveexec_b64 s[6:7], s[4:5]
	s_cbranch_execz .LBB23_29
; %bb.31:                               ;   in Loop: Header=BB23_30 Depth=1
	v_lshrrev_b64 v[9:10], s9, v[5:6]
	s_min_u32 s10, s8, 8
	v_bfe_u32 v9, v9, 0, s10
	v_lshl_add_u32 v9, v9, 4, v8
	ds_add_u32 v9, v7
	s_branch .LBB23_29
.LBB23_32:
	v_mov_b32_e32 v5, 1
	s_mov_b32 s6, s22
	v_mov_b32_e32 v6, v13
	s_mov_b32 s7, s20
	s_branch .LBB23_34
.LBB23_33:                              ;   in Loop: Header=BB23_34 Depth=1
	s_or_b64 exec, exec, s[4:5]
	s_add_i32 s7, s7, 8
	s_add_i32 s6, s6, -8
	s_cmp_lt_u32 s7, s21
	v_add_u32_e32 v6, 0x1000, v6
	s_cbranch_scc0 .LBB23_36
.LBB23_34:                              ; =>This Inner Loop Header: Depth=1
	s_and_saveexec_b64 s[4:5], s[2:3]
	s_cbranch_execz .LBB23_33
; %bb.35:                               ;   in Loop: Header=BB23_34 Depth=1
	v_lshrrev_b64 v[7:8], s7, v[3:4]
	s_min_u32 s8, s6, 8
	v_bfe_u32 v7, v7, 0, s8
	v_lshl_add_u32 v7, v7, 4, v6
	ds_add_u32 v7, v5
	s_branch .LBB23_33
.LBB23_36:
	v_mov_b32_e32 v3, 1
	s_mov_b32 s4, s20
	s_branch .LBB23_38
.LBB23_37:                              ;   in Loop: Header=BB23_38 Depth=1
	s_or_b64 exec, exec, s[2:3]
	s_add_i32 s4, s4, 8
	s_add_i32 s22, s22, -8
	s_cmp_lt_u32 s4, s21
	v_add_u32_e32 v13, 0x1000, v13
	s_cbranch_scc0 .LBB23_40
.LBB23_38:                              ; =>This Inner Loop Header: Depth=1
	s_and_saveexec_b64 s[2:3], s[0:1]
	s_cbranch_execz .LBB23_37
; %bb.39:                               ;   in Loop: Header=BB23_38 Depth=1
	v_lshrrev_b64 v[4:5], s4, v[1:2]
	s_min_u32 s5, s22, 8
	v_bfe_u32 v4, v4, 0, s5
	v_lshl_add_u32 v4, v4, 4, v13
	ds_add_u32 v4, v3
	s_branch .LBB23_37
.LBB23_40:
	s_and_b64 vcc, exec, s[16:17]
	s_waitcnt lgkmcnt(0)
	s_barrier
	s_cbranch_vccz .LBB23_45
; %bb.41:
	s_movk_i32 s0, 0x100
	v_cmp_gt_u32_e32 vcc, s0, v0
	v_lshlrev_b32_e32 v3, 4, v0
	v_mov_b32_e32 v2, 0
	v_mov_b32_e32 v1, v0
	s_mov_b32 s4, s20
	s_branch .LBB23_43
.LBB23_42:                              ;   in Loop: Header=BB23_43 Depth=1
	s_or_b64 exec, exec, s[2:3]
	s_add_i32 s4, s4, 8
	v_add_u32_e32 v1, 0x100, v1
	s_cmp_lt_u32 s4, s21
	v_add_u32_e32 v3, 0x1000, v3
	s_cbranch_scc0 .LBB23_45
.LBB23_43:                              ; =>This Inner Loop Header: Depth=1
	s_and_saveexec_b64 s[2:3], vcc
	s_cbranch_execz .LBB23_42
; %bb.44:                               ;   in Loop: Header=BB23_43 Depth=1
	ds_read2_b32 v[4:5], v3 offset1:1
	ds_read2_b32 v[6:7], v3 offset0:2 offset1:3
	v_lshlrev_b64 v[8:9], 3, v[1:2]
	v_mov_b32_e32 v10, s15
	s_waitcnt lgkmcnt(1)
	v_add_u32_e32 v4, v5, v4
	s_waitcnt lgkmcnt(0)
	v_add3_u32 v4, v4, v6, v7
	v_add_co_u32_e64 v6, s[0:1], s14, v8
	v_addc_co_u32_e64 v7, s[0:1], v10, v9, s[0:1]
	v_mov_b32_e32 v5, v2
	global_atomic_add_x2 v[6:7], v[4:5], off
	s_branch .LBB23_42
.LBB23_45:
	s_mov_b64 s[0:1], 0
.LBB23_46:
	s_and_b64 vcc, exec, s[0:1]
	s_cbranch_vccz .LBB23_74
; %bb.47:
	v_mov_b32_e32 v1, s13
	v_add_co_u32_e32 v18, vcc, s12, v15
	v_addc_co_u32_e32 v19, vcc, 0, v1, vcc
	v_add_co_u32_e32 v1, vcc, 0x1000, v18
	v_addc_co_u32_e32 v2, vcc, 0, v19, vcc
	;; [unrolled: 2-line block ×5, first 2 shown]
	global_load_dwordx2 v[9:10], v[1:2], off
	global_load_dwordx2 v[7:8], v[11:12], off
	;; [unrolled: 1-line block ×4, first 2 shown]
	v_add_co_u32_e32 v13, vcc, 0x5000, v18
	v_addc_co_u32_e32 v14, vcc, 0, v19, vcc
	global_load_dwordx2 v[11:12], v15, s[12:13]
	global_load_dwordx2 v[1:2], v[13:14], off
	s_cmp_eq_u32 s20, 0
	s_cselect_b64 s[0:1], -1, 0
	s_cmp_eq_u32 s21, 64
	s_cselect_b64 s[2:3], -1, 0
	s_and_b64 s[2:3], s[0:1], s[2:3]
	v_mov_b32_e32 v13, 0
	s_mov_b64 s[0:1], -1
	s_and_b64 vcc, exec, s[2:3]
	v_lshlrev_b32_e32 v16, 2, v0
	s_cbranch_vccnz .LBB23_69
; %bb.48:
	v_or_b32_e32 v14, 0xfffffe00, v0
	v_lshlrev_b32_e32 v17, 2, v0
	s_mov_b64 s[0:1], 0
	s_movk_i32 s2, 0x1dff
.LBB23_49:                              ; =>This Inner Loop Header: Depth=1
	v_add_u32_e32 v14, 0x200, v14
	v_cmp_lt_u32_e32 vcc, s2, v14
	ds_write_b32 v17, v13
	s_or_b64 s[0:1], vcc, s[0:1]
	v_add_u32_e32 v17, 0x800, v17
	s_andn2_b64 exec, exec, s[0:1]
	s_cbranch_execnz .LBB23_49
; %bb.50:
	s_or_b64 exec, exec, s[0:1]
	s_cmp_gt_u32 s21, s20
	s_cselect_b64 s[0:1], -1, 0
	s_cmp_le_u32 s21, s20
	s_waitcnt vmcnt(0) lgkmcnt(0)
	s_barrier
	s_cbranch_scc1 .LBB23_63
; %bb.51:
	v_and_b32_e32 v13, 3, v0
	v_lshlrev_b32_e32 v13, 2, v13
	s_sub_i32 s2, s21, s20
	v_mov_b32_e32 v14, 1
	s_mov_b32 s3, s2
	v_mov_b32_e32 v17, v13
	s_mov_b32 s4, s20
.LBB23_52:                              ; =>This Inner Loop Header: Depth=1
	v_lshrrev_b64 v[18:19], s4, v[11:12]
	s_min_u32 s5, s3, 8
	v_bfe_u32 v18, v18, 0, s5
	v_lshl_add_u32 v18, v18, 4, v17
	ds_add_u32 v18, v14
	s_add_i32 s4, s4, 8
	s_add_i32 s3, s3, -8
	s_cmp_lt_u32 s4, s21
	v_add_u32_e32 v17, 0x1000, v17
	s_cbranch_scc1 .LBB23_52
; %bb.53:
	v_mov_b32_e32 v14, 1
	s_mov_b32 s3, s2
	v_mov_b32_e32 v17, v13
	s_mov_b32 s4, s20
.LBB23_54:                              ; =>This Inner Loop Header: Depth=1
	v_lshrrev_b64 v[18:19], s4, v[9:10]
	s_min_u32 s5, s3, 8
	v_bfe_u32 v18, v18, 0, s5
	v_lshl_add_u32 v18, v18, 4, v17
	ds_add_u32 v18, v14
	s_add_i32 s4, s4, 8
	s_add_i32 s3, s3, -8
	s_cmp_lt_u32 s4, s21
	v_add_u32_e32 v17, 0x1000, v17
	s_cbranch_scc1 .LBB23_54
; %bb.55:
	;; [unrolled: 16-line block ×5, first 2 shown]
	v_mov_b32_e32 v14, 1
	s_mov_b32 s3, s20
.LBB23_62:                              ; =>This Inner Loop Header: Depth=1
	v_lshrrev_b64 v[17:18], s3, v[1:2]
	s_min_u32 s4, s2, 8
	v_bfe_u32 v17, v17, 0, s4
	v_lshl_add_u32 v17, v17, 4, v13
	ds_add_u32 v17, v14
	s_add_i32 s3, s3, 8
	s_add_i32 s2, s2, -8
	s_cmp_lt_u32 s3, s21
	v_add_u32_e32 v13, 0x1000, v13
	s_cbranch_scc1 .LBB23_62
.LBB23_63:
	s_and_b64 vcc, exec, s[0:1]
	s_waitcnt lgkmcnt(0)
	s_barrier
	s_cbranch_vccz .LBB23_68
; %bb.64:
	s_movk_i32 s0, 0x100
	v_cmp_gt_u32_e32 vcc, s0, v0
	v_lshlrev_b32_e32 v17, 4, v0
	v_mov_b32_e32 v14, 0
	v_mov_b32_e32 v13, v0
	s_branch .LBB23_66
.LBB23_65:                              ;   in Loop: Header=BB23_66 Depth=1
	s_or_b64 exec, exec, s[2:3]
	s_add_i32 s20, s20, 8
	v_add_u32_e32 v13, 0x100, v13
	s_cmp_ge_u32 s20, s21
	v_add_u32_e32 v17, 0x1000, v17
	s_cbranch_scc1 .LBB23_68
.LBB23_66:                              ; =>This Inner Loop Header: Depth=1
	s_and_saveexec_b64 s[2:3], vcc
	s_cbranch_execz .LBB23_65
; %bb.67:                               ;   in Loop: Header=BB23_66 Depth=1
	ds_read2_b32 v[18:19], v17 offset1:1
	ds_read2_b32 v[20:21], v17 offset0:2 offset1:3
	v_lshlrev_b64 v[22:23], 3, v[13:14]
	v_mov_b32_e32 v24, s15
	s_waitcnt lgkmcnt(1)
	v_add_u32_e32 v18, v19, v18
	s_waitcnt lgkmcnt(0)
	v_add3_u32 v18, v18, v20, v21
	v_add_co_u32_e64 v20, s[0:1], s14, v22
	v_addc_co_u32_e64 v21, s[0:1], v24, v23, s[0:1]
	v_mov_b32_e32 v19, v14
	global_atomic_add_x2 v[20:21], v[18:19], off
	s_branch .LBB23_65
.LBB23_68:
	s_mov_b64 s[0:1], 0
.LBB23_69:
	s_and_b64 vcc, exec, s[0:1]
	s_cbranch_vccz .LBB23_74
; %bb.70:
	v_or_b32_e32 v13, 0xfffffe00, v0
	s_mov_b64 s[0:1], 0
	v_mov_b32_e32 v14, 0
	s_movk_i32 s2, 0x1dff
.LBB23_71:                              ; =>This Inner Loop Header: Depth=1
	v_add_u32_e32 v13, 0x200, v13
	v_cmp_lt_u32_e32 vcc, s2, v13
	ds_write_b32 v16, v14
	s_or_b64 s[0:1], vcc, s[0:1]
	v_add_u32_e32 v16, 0x800, v16
	s_andn2_b64 exec, exec, s[0:1]
	s_cbranch_execnz .LBB23_71
; %bb.72:
	s_or_b64 exec, exec, s[0:1]
	v_and_b32_e32 v13, 3, v0
	s_waitcnt vmcnt(1)
	v_lshlrev_b32_e32 v14, 4, v11
	v_lshlrev_b32_e32 v13, 2, v13
	s_movk_i32 s0, 0xff0
	v_and_or_b32 v14, v14, s0, v13
	v_mov_b32_e32 v16, 1
	s_waitcnt vmcnt(0) lgkmcnt(0)
	s_barrier
	ds_add_u32 v14, v16
	v_bfe_u32 v14, v11, 8, 8
	v_lshl_or_b32 v14, v14, 4, v13
	ds_add_u32 v14, v16 offset:4096
	v_bfe_u32 v14, v11, 16, 8
	v_lshl_or_b32 v14, v14, 4, v13
	ds_add_u32 v14, v16 offset:8192
	v_lshrrev_b32_e32 v14, 24, v11
	v_alignbit_b32 v11, v12, v11, 30
	v_lshl_or_b32 v14, v14, 4, v13
	v_and_b32_e32 v11, 0x3fc, v11
	ds_add_u32 v14, v16 offset:12288
	v_lshl_or_b32 v11, v11, 2, v13
	ds_add_u32 v11, v16 offset:16384
	v_bfe_u32 v11, v12, 8, 8
	v_lshl_or_b32 v11, v11, 4, v13
	ds_add_u32 v11, v16 offset:20480
	v_bfe_u32 v11, v12, 16, 8
	v_lshl_or_b32 v11, v11, 4, v13
	ds_add_u32 v11, v16 offset:24576
	v_lshrrev_b32_e32 v11, 24, v12
	v_lshl_or_b32 v11, v11, 4, v13
	ds_add_u32 v11, v16 offset:28672
	v_lshlrev_b32_e32 v11, 4, v9
	v_and_or_b32 v11, v11, s0, v13
	ds_add_u32 v11, v16
	v_bfe_u32 v11, v9, 8, 8
	v_lshl_or_b32 v11, v11, 4, v13
	ds_add_u32 v11, v16 offset:4096
	v_bfe_u32 v11, v9, 16, 8
	v_lshl_or_b32 v11, v11, 4, v13
	ds_add_u32 v11, v16 offset:8192
	v_lshrrev_b32_e32 v11, 24, v9
	v_alignbit_b32 v9, v10, v9, 30
	v_lshl_or_b32 v11, v11, 4, v13
	v_and_b32_e32 v9, 0x3fc, v9
	ds_add_u32 v11, v16 offset:12288
	v_lshl_or_b32 v9, v9, 2, v13
	ds_add_u32 v9, v16 offset:16384
	v_bfe_u32 v9, v10, 8, 8
	v_lshl_or_b32 v9, v9, 4, v13
	ds_add_u32 v9, v16 offset:20480
	v_bfe_u32 v9, v10, 16, 8
	v_lshl_or_b32 v9, v9, 4, v13
	ds_add_u32 v9, v16 offset:24576
	v_lshrrev_b32_e32 v9, 24, v10
	v_lshl_or_b32 v9, v9, 4, v13
	ds_add_u32 v9, v16 offset:28672
	v_lshlrev_b32_e32 v9, 4, v7
	v_and_or_b32 v9, v9, s0, v13
	;; [unrolled: 25-line block ×5, first 2 shown]
	ds_add_u32 v3, v16
	v_bfe_u32 v3, v1, 8, 8
	v_lshl_or_b32 v3, v3, 4, v13
	ds_add_u32 v3, v16 offset:4096
	v_bfe_u32 v3, v1, 16, 8
	v_lshl_or_b32 v3, v3, 4, v13
	ds_add_u32 v3, v16 offset:8192
	v_lshrrev_b32_e32 v3, 24, v1
	v_alignbit_b32 v1, v2, v1, 30
	v_lshl_or_b32 v3, v3, 4, v13
	v_and_b32_e32 v1, 0x3fc, v1
	ds_add_u32 v3, v16 offset:12288
	v_lshl_or_b32 v1, v1, 2, v13
	ds_add_u32 v1, v16 offset:16384
	v_bfe_u32 v1, v2, 8, 8
	v_lshl_or_b32 v1, v1, 4, v13
	ds_add_u32 v1, v16 offset:20480
	v_bfe_u32 v1, v2, 16, 8
	v_lshl_or_b32 v1, v1, 4, v13
	ds_add_u32 v1, v16 offset:24576
	v_lshrrev_b32_e32 v1, 24, v2
	v_lshl_or_b32 v1, v1, 4, v13
	ds_add_u32 v1, v16 offset:28672
	s_movk_i32 s0, 0x100
	v_cmp_gt_u32_e32 vcc, s0, v0
	s_waitcnt lgkmcnt(0)
	s_barrier
	s_and_saveexec_b64 s[0:1], vcc
	s_cbranch_execz .LBB23_74
; %bb.73:
	v_lshlrev_b32_e32 v9, 4, v0
	ds_read2_b32 v[0:1], v9 offset1:1
	ds_read2_b32 v[2:3], v9 offset0:2 offset1:3
	v_mov_b32_e32 v4, 0
	v_add_u32_e32 v5, 0x1000, v9
	v_add_u32_e32 v6, 0x1008, v9
	s_waitcnt lgkmcnt(1)
	v_add_u32_e32 v0, v1, v0
	s_waitcnt lgkmcnt(0)
	v_add3_u32 v3, v0, v2, v3
	global_atomic_add_x2 v15, v[3:4], s[14:15]
	ds_read2_b32 v[0:1], v5 offset1:1
	ds_read2_b32 v[2:3], v6 offset1:1
	v_or_b32_e32 v6, 0x2000, v9
	v_or_b32_e32 v7, 0x2008, v9
	v_mov_b32_e32 v5, s15
	s_waitcnt lgkmcnt(1)
	v_add_u32_e32 v0, v1, v0
	s_waitcnt lgkmcnt(0)
	v_add3_u32 v3, v0, v2, v3
	global_atomic_add_x2 v15, v[3:4], s[14:15] offset:2048
	ds_read2_b32 v[0:1], v6 offset1:1
	ds_read2_b32 v[2:3], v7 offset1:1
	v_add_co_u32_e32 v10, vcc, s14, v15
	v_addc_co_u32_e32 v11, vcc, 0, v5, vcc
	s_movk_i32 s1, 0x2000
	s_waitcnt lgkmcnt(1)
	v_add_u32_e32 v0, v1, v0
	s_waitcnt lgkmcnt(0)
	v_add3_u32 v3, v0, v2, v3
	v_add_co_u32_e32 v0, vcc, s1, v10
	v_addc_co_u32_e32 v1, vcc, 0, v11, vcc
	global_atomic_add_x2 v[0:1], v[3:4], off offset:-4096
	v_add_u32_e32 v2, 0x3000, v9
	v_add_u32_e32 v5, 0x3008, v9
	ds_read2_b32 v[2:3], v2 offset1:1
	ds_read2_b32 v[5:6], v5 offset1:1
	s_movk_i32 s0, 0x1000
	v_add_co_u32_e32 v7, vcc, s0, v10
	s_waitcnt lgkmcnt(1)
	v_add_u32_e32 v2, v3, v2
	v_addc_co_u32_e32 v8, vcc, 0, v11, vcc
	s_waitcnt lgkmcnt(0)
	v_add3_u32 v3, v2, v5, v6
	global_atomic_add_x2 v[7:8], v[3:4], off offset:2048
	v_or_b32_e32 v2, 0x4000, v9
	v_or_b32_e32 v5, 0x4008, v9
	ds_read2_b32 v[2:3], v2 offset1:1
	ds_read2_b32 v[5:6], v5 offset1:1
	s_movk_i32 s0, 0x3000
	s_waitcnt lgkmcnt(1)
	v_add_u32_e32 v2, v3, v2
	s_waitcnt lgkmcnt(0)
	v_add3_u32 v3, v2, v5, v6
	global_atomic_add_x2 v[0:1], v[3:4], off
	v_add_u32_e32 v2, 0x5000, v9
	v_add_u32_e32 v5, 0x5008, v9
	ds_read2_b32 v[2:3], v2 offset1:1
	ds_read2_b32 v[5:6], v5 offset1:1
	s_waitcnt lgkmcnt(1)
	v_add_u32_e32 v2, v3, v2
	s_waitcnt lgkmcnt(0)
	v_add3_u32 v3, v2, v5, v6
	global_atomic_add_x2 v[0:1], v[3:4], off offset:2048
	v_or_b32_e32 v0, 0x6000, v9
	v_or_b32_e32 v2, 0x6008, v9
	ds_read2_b32 v[0:1], v0 offset1:1
	ds_read2_b32 v[2:3], v2 offset1:1
	v_add_u32_e32 v5, 0x7008, v9
	s_waitcnt lgkmcnt(1)
	v_add_u32_e32 v0, v1, v0
	s_waitcnt lgkmcnt(0)
	v_add3_u32 v3, v0, v2, v3
	v_add_co_u32_e32 v0, vcc, s0, v10
	v_addc_co_u32_e32 v1, vcc, 0, v11, vcc
	global_atomic_add_x2 v[0:1], v[3:4], off
	v_add_u32_e32 v2, 0x7000, v9
	ds_read2_b32 v[2:3], v2 offset1:1
	ds_read2_b32 v[5:6], v5 offset1:1
	s_waitcnt lgkmcnt(1)
	v_add_u32_e32 v2, v3, v2
	s_waitcnt lgkmcnt(0)
	v_add3_u32 v3, v2, v5, v6
	global_atomic_add_x2 v[0:1], v[3:4], off offset:2048
.LBB23_74:
	s_endpgm
	.section	.rodata,"a",@progbits
	.p2align	6, 0x0
	.amdhsa_kernel _ZN7rocprim17ROCPRIM_304000_NS6detail26onesweep_histograms_kernelINS1_34wrapped_radix_sort_onesweep_configINS0_14default_configEmN2at4cuda3cub6detail10OpaqueTypeILi8EEEEELb0EPKmmNS0_19identity_decomposerEEEvT1_PT2_SG_SG_T3_jj
		.amdhsa_group_segment_fixed_size 32768
		.amdhsa_private_segment_fixed_size 0
		.amdhsa_kernarg_size 44
		.amdhsa_user_sgpr_count 6
		.amdhsa_user_sgpr_private_segment_buffer 1
		.amdhsa_user_sgpr_dispatch_ptr 0
		.amdhsa_user_sgpr_queue_ptr 0
		.amdhsa_user_sgpr_kernarg_segment_ptr 1
		.amdhsa_user_sgpr_dispatch_id 0
		.amdhsa_user_sgpr_flat_scratch_init 0
		.amdhsa_user_sgpr_private_segment_size 0
		.amdhsa_uses_dynamic_stack 0
		.amdhsa_system_sgpr_private_segment_wavefront_offset 0
		.amdhsa_system_sgpr_workgroup_id_x 1
		.amdhsa_system_sgpr_workgroup_id_y 0
		.amdhsa_system_sgpr_workgroup_id_z 0
		.amdhsa_system_sgpr_workgroup_info 0
		.amdhsa_system_vgpr_workitem_id 0
		.amdhsa_next_free_vgpr 49
		.amdhsa_next_free_sgpr 98
		.amdhsa_reserve_vcc 1
		.amdhsa_reserve_flat_scratch 0
		.amdhsa_float_round_mode_32 0
		.amdhsa_float_round_mode_16_64 0
		.amdhsa_float_denorm_mode_32 3
		.amdhsa_float_denorm_mode_16_64 3
		.amdhsa_dx10_clamp 1
		.amdhsa_ieee_mode 1
		.amdhsa_fp16_overflow 0
		.amdhsa_exception_fp_ieee_invalid_op 0
		.amdhsa_exception_fp_denorm_src 0
		.amdhsa_exception_fp_ieee_div_zero 0
		.amdhsa_exception_fp_ieee_overflow 0
		.amdhsa_exception_fp_ieee_underflow 0
		.amdhsa_exception_fp_ieee_inexact 0
		.amdhsa_exception_int_div_zero 0
	.end_amdhsa_kernel
	.section	.text._ZN7rocprim17ROCPRIM_304000_NS6detail26onesweep_histograms_kernelINS1_34wrapped_radix_sort_onesweep_configINS0_14default_configEmN2at4cuda3cub6detail10OpaqueTypeILi8EEEEELb0EPKmmNS0_19identity_decomposerEEEvT1_PT2_SG_SG_T3_jj,"axG",@progbits,_ZN7rocprim17ROCPRIM_304000_NS6detail26onesweep_histograms_kernelINS1_34wrapped_radix_sort_onesweep_configINS0_14default_configEmN2at4cuda3cub6detail10OpaqueTypeILi8EEEEELb0EPKmmNS0_19identity_decomposerEEEvT1_PT2_SG_SG_T3_jj,comdat
.Lfunc_end23:
	.size	_ZN7rocprim17ROCPRIM_304000_NS6detail26onesweep_histograms_kernelINS1_34wrapped_radix_sort_onesweep_configINS0_14default_configEmN2at4cuda3cub6detail10OpaqueTypeILi8EEEEELb0EPKmmNS0_19identity_decomposerEEEvT1_PT2_SG_SG_T3_jj, .Lfunc_end23-_ZN7rocprim17ROCPRIM_304000_NS6detail26onesweep_histograms_kernelINS1_34wrapped_radix_sort_onesweep_configINS0_14default_configEmN2at4cuda3cub6detail10OpaqueTypeILi8EEEEELb0EPKmmNS0_19identity_decomposerEEEvT1_PT2_SG_SG_T3_jj
                                        ; -- End function
	.set _ZN7rocprim17ROCPRIM_304000_NS6detail26onesweep_histograms_kernelINS1_34wrapped_radix_sort_onesweep_configINS0_14default_configEmN2at4cuda3cub6detail10OpaqueTypeILi8EEEEELb0EPKmmNS0_19identity_decomposerEEEvT1_PT2_SG_SG_T3_jj.num_vgpr, 25
	.set _ZN7rocprim17ROCPRIM_304000_NS6detail26onesweep_histograms_kernelINS1_34wrapped_radix_sort_onesweep_configINS0_14default_configEmN2at4cuda3cub6detail10OpaqueTypeILi8EEEEELb0EPKmmNS0_19identity_decomposerEEEvT1_PT2_SG_SG_T3_jj.num_agpr, 0
	.set _ZN7rocprim17ROCPRIM_304000_NS6detail26onesweep_histograms_kernelINS1_34wrapped_radix_sort_onesweep_configINS0_14default_configEmN2at4cuda3cub6detail10OpaqueTypeILi8EEEEELb0EPKmmNS0_19identity_decomposerEEEvT1_PT2_SG_SG_T3_jj.numbered_sgpr, 26
	.set _ZN7rocprim17ROCPRIM_304000_NS6detail26onesweep_histograms_kernelINS1_34wrapped_radix_sort_onesweep_configINS0_14default_configEmN2at4cuda3cub6detail10OpaqueTypeILi8EEEEELb0EPKmmNS0_19identity_decomposerEEEvT1_PT2_SG_SG_T3_jj.num_named_barrier, 0
	.set _ZN7rocprim17ROCPRIM_304000_NS6detail26onesweep_histograms_kernelINS1_34wrapped_radix_sort_onesweep_configINS0_14default_configEmN2at4cuda3cub6detail10OpaqueTypeILi8EEEEELb0EPKmmNS0_19identity_decomposerEEEvT1_PT2_SG_SG_T3_jj.private_seg_size, 0
	.set _ZN7rocprim17ROCPRIM_304000_NS6detail26onesweep_histograms_kernelINS1_34wrapped_radix_sort_onesweep_configINS0_14default_configEmN2at4cuda3cub6detail10OpaqueTypeILi8EEEEELb0EPKmmNS0_19identity_decomposerEEEvT1_PT2_SG_SG_T3_jj.uses_vcc, 1
	.set _ZN7rocprim17ROCPRIM_304000_NS6detail26onesweep_histograms_kernelINS1_34wrapped_radix_sort_onesweep_configINS0_14default_configEmN2at4cuda3cub6detail10OpaqueTypeILi8EEEEELb0EPKmmNS0_19identity_decomposerEEEvT1_PT2_SG_SG_T3_jj.uses_flat_scratch, 0
	.set _ZN7rocprim17ROCPRIM_304000_NS6detail26onesweep_histograms_kernelINS1_34wrapped_radix_sort_onesweep_configINS0_14default_configEmN2at4cuda3cub6detail10OpaqueTypeILi8EEEEELb0EPKmmNS0_19identity_decomposerEEEvT1_PT2_SG_SG_T3_jj.has_dyn_sized_stack, 0
	.set _ZN7rocprim17ROCPRIM_304000_NS6detail26onesweep_histograms_kernelINS1_34wrapped_radix_sort_onesweep_configINS0_14default_configEmN2at4cuda3cub6detail10OpaqueTypeILi8EEEEELb0EPKmmNS0_19identity_decomposerEEEvT1_PT2_SG_SG_T3_jj.has_recursion, 0
	.set _ZN7rocprim17ROCPRIM_304000_NS6detail26onesweep_histograms_kernelINS1_34wrapped_radix_sort_onesweep_configINS0_14default_configEmN2at4cuda3cub6detail10OpaqueTypeILi8EEEEELb0EPKmmNS0_19identity_decomposerEEEvT1_PT2_SG_SG_T3_jj.has_indirect_call, 0
	.section	.AMDGPU.csdata,"",@progbits
; Kernel info:
; codeLenInByte = 3852
; TotalNumSgprs: 30
; NumVgprs: 25
; ScratchSize: 0
; MemoryBound: 0
; FloatMode: 240
; IeeeMode: 1
; LDSByteSize: 32768 bytes/workgroup (compile time only)
; SGPRBlocks: 12
; VGPRBlocks: 12
; NumSGPRsForWavesPerEU: 102
; NumVGPRsForWavesPerEU: 49
; Occupancy: 4
; WaveLimiterHint : 1
; COMPUTE_PGM_RSRC2:SCRATCH_EN: 0
; COMPUTE_PGM_RSRC2:USER_SGPR: 6
; COMPUTE_PGM_RSRC2:TRAP_HANDLER: 0
; COMPUTE_PGM_RSRC2:TGID_X_EN: 1
; COMPUTE_PGM_RSRC2:TGID_Y_EN: 0
; COMPUTE_PGM_RSRC2:TGID_Z_EN: 0
; COMPUTE_PGM_RSRC2:TIDIG_COMP_CNT: 0
	.section	.text._ZN7rocprim17ROCPRIM_304000_NS6detail25onesweep_iteration_kernelINS1_34wrapped_radix_sort_onesweep_configINS0_14default_configEmN2at4cuda3cub6detail10OpaqueTypeILi8EEEEELb0EPKmPmPKSA_PSA_mNS0_19identity_decomposerEEEvT1_T2_T3_T4_jPT5_SO_PNS1_23onesweep_lookback_stateET6_jjj,"axG",@progbits,_ZN7rocprim17ROCPRIM_304000_NS6detail25onesweep_iteration_kernelINS1_34wrapped_radix_sort_onesweep_configINS0_14default_configEmN2at4cuda3cub6detail10OpaqueTypeILi8EEEEELb0EPKmPmPKSA_PSA_mNS0_19identity_decomposerEEEvT1_T2_T3_T4_jPT5_SO_PNS1_23onesweep_lookback_stateET6_jjj,comdat
	.protected	_ZN7rocprim17ROCPRIM_304000_NS6detail25onesweep_iteration_kernelINS1_34wrapped_radix_sort_onesweep_configINS0_14default_configEmN2at4cuda3cub6detail10OpaqueTypeILi8EEEEELb0EPKmPmPKSA_PSA_mNS0_19identity_decomposerEEEvT1_T2_T3_T4_jPT5_SO_PNS1_23onesweep_lookback_stateET6_jjj ; -- Begin function _ZN7rocprim17ROCPRIM_304000_NS6detail25onesweep_iteration_kernelINS1_34wrapped_radix_sort_onesweep_configINS0_14default_configEmN2at4cuda3cub6detail10OpaqueTypeILi8EEEEELb0EPKmPmPKSA_PSA_mNS0_19identity_decomposerEEEvT1_T2_T3_T4_jPT5_SO_PNS1_23onesweep_lookback_stateET6_jjj
	.globl	_ZN7rocprim17ROCPRIM_304000_NS6detail25onesweep_iteration_kernelINS1_34wrapped_radix_sort_onesweep_configINS0_14default_configEmN2at4cuda3cub6detail10OpaqueTypeILi8EEEEELb0EPKmPmPKSA_PSA_mNS0_19identity_decomposerEEEvT1_T2_T3_T4_jPT5_SO_PNS1_23onesweep_lookback_stateET6_jjj
	.p2align	8
	.type	_ZN7rocprim17ROCPRIM_304000_NS6detail25onesweep_iteration_kernelINS1_34wrapped_radix_sort_onesweep_configINS0_14default_configEmN2at4cuda3cub6detail10OpaqueTypeILi8EEEEELb0EPKmPmPKSA_PSA_mNS0_19identity_decomposerEEEvT1_T2_T3_T4_jPT5_SO_PNS1_23onesweep_lookback_stateET6_jjj,@function
_ZN7rocprim17ROCPRIM_304000_NS6detail25onesweep_iteration_kernelINS1_34wrapped_radix_sort_onesweep_configINS0_14default_configEmN2at4cuda3cub6detail10OpaqueTypeILi8EEEEELb0EPKmPmPKSA_PSA_mNS0_19identity_decomposerEEEvT1_T2_T3_T4_jPT5_SO_PNS1_23onesweep_lookback_stateET6_jjj: ; @_ZN7rocprim17ROCPRIM_304000_NS6detail25onesweep_iteration_kernelINS1_34wrapped_radix_sort_onesweep_configINS0_14default_configEmN2at4cuda3cub6detail10OpaqueTypeILi8EEEEELb0EPKmPmPKSA_PSA_mNS0_19identity_decomposerEEEvT1_T2_T3_T4_jPT5_SO_PNS1_23onesweep_lookback_stateET6_jjj
; %bb.0:
	s_load_dwordx4 s[48:51], s[4:5], 0x44
	s_load_dwordx8 s[36:43], s[4:5], 0x0
	s_load_dwordx4 s[44:47], s[4:5], 0x28
	s_load_dwordx2 s[30:31], s[4:5], 0x38
	s_mov_b64 s[0:1], -1
	s_waitcnt lgkmcnt(0)
	s_cmp_ge_u32 s6, s50
	s_mul_i32 s34, s6, 0xc00
	v_mbcnt_lo_u32_b32 v19, -1, 0
	s_cbranch_scc0 .LBB24_96
; %bb.1:
	s_load_dword s0, s[4:5], 0x20
	s_mul_i32 s1, s50, 0xfffff400
	s_mov_b32 s35, 0
	s_lshl_b64 s[50:51], s[34:35], 3
	v_mbcnt_hi_u32_b32 v22, -1, v19
	s_waitcnt lgkmcnt(0)
	s_add_i32 s35, s1, s0
	s_add_u32 s0, s36, s50
	s_addc_u32 s1, s37, s51
	v_and_b32_e32 v23, 0x1c0, v0
	v_lshlrev_b32_e32 v20, 3, v22
	v_mul_u32_u24_e32 v3, 6, v23
	v_mov_b32_e32 v4, s1
	v_add_co_u32_e32 v5, vcc, s0, v20
	v_addc_co_u32_e32 v4, vcc, 0, v4, vcc
	v_lshlrev_b32_e32 v21, 3, v3
	v_add_co_u32_e32 v15, vcc, v5, v21
	v_addc_co_u32_e32 v16, vcc, 0, v4, vcc
	v_or_b32_e32 v17, v22, v3
	v_mov_b32_e32 v3, -1
	v_mov_b32_e32 v5, -1
	;; [unrolled: 1-line block ×4, first 2 shown]
	v_cmp_gt_u32_e32 vcc, s35, v17
	s_and_saveexec_b64 s[0:1], vcc
	s_cbranch_execz .LBB24_3
; %bb.2:
	global_load_dwordx2 v[5:6], v[15:16], off
.LBB24_3:
	s_or_b64 exec, exec, s[0:1]
	v_add_u32_e32 v7, 64, v17
	v_cmp_gt_u32_e64 s[0:1], s35, v7
	s_and_saveexec_b64 s[2:3], s[0:1]
	s_cbranch_execz .LBB24_5
; %bb.4:
	global_load_dwordx2 v[3:4], v[15:16], off offset:512
.LBB24_5:
	s_or_b64 exec, exec, s[2:3]
	v_add_u32_e32 v11, 0x80, v17
	v_mov_b32_e32 v7, -1
	v_mov_b32_e32 v9, -1
	;; [unrolled: 1-line block ×4, first 2 shown]
	v_cmp_gt_u32_e64 s[2:3], s35, v11
	s_and_saveexec_b64 s[8:9], s[2:3]
	s_cbranch_execz .LBB24_7
; %bb.6:
	global_load_dwordx2 v[9:10], v[15:16], off offset:1024
.LBB24_7:
	s_or_b64 exec, exec, s[8:9]
	v_add_u32_e32 v11, 0xc0, v17
	v_cmp_gt_u32_e64 s[26:27], s35, v11
	s_and_saveexec_b64 s[8:9], s[26:27]
	s_cbranch_execz .LBB24_9
; %bb.8:
	global_load_dwordx2 v[7:8], v[15:16], off offset:1536
.LBB24_9:
	s_or_b64 exec, exec, s[8:9]
	v_add_u32_e32 v18, 0x100, v17
	v_mov_b32_e32 v11, -1
	v_mov_b32_e32 v13, -1
	;; [unrolled: 1-line block ×4, first 2 shown]
	v_cmp_gt_u32_e64 s[8:9], s35, v18
	s_and_saveexec_b64 s[10:11], s[8:9]
	s_cbranch_execz .LBB24_11
; %bb.10:
	global_load_dwordx2 v[13:14], v[15:16], off offset:2048
.LBB24_11:
	s_or_b64 exec, exec, s[10:11]
	v_add_u32_e32 v17, 0x140, v17
	v_cmp_gt_u32_e64 s[10:11], s35, v17
	s_and_saveexec_b64 s[12:13], s[10:11]
	s_cbranch_execz .LBB24_13
; %bb.12:
	global_load_dwordx2 v[11:12], v[15:16], off offset:2560
.LBB24_13:
	s_or_b64 exec, exec, s[12:13]
	s_load_dword s12, s[4:5], 0x5c
	s_load_dword s7, s[4:5], 0x50
	s_add_u32 s13, s4, 0x50
	s_addc_u32 s14, s5, 0
	v_mov_b32_e32 v15, 0
	s_waitcnt lgkmcnt(0)
	s_lshr_b32 s15, s12, 16
	s_cmp_lt_u32 s6, s7
	s_cselect_b32 s12, 12, 18
	s_add_u32 s12, s13, s12
	s_addc_u32 s13, s14, 0
	global_load_ushort v18, v15, s[12:13]
	s_waitcnt vmcnt(1)
	v_lshrrev_b64 v[16:17], s48, v[5:6]
	s_lshl_b32 s12, -1, s49
	s_not_b32 s33, s12
	v_and_b32_e32 v25, s33, v16
	v_and_b32_e32 v26, 1, v25
	v_add_co_u32_e64 v28, s[12:13], -1, v26
	v_lshlrev_b32_e32 v16, 30, v25
	v_addc_co_u32_e64 v29, s[12:13], 0, -1, s[12:13]
	v_mad_u32_u24 v17, v2, s15, v1
	v_cmp_ne_u32_e64 s[12:13], 0, v26
	v_cmp_gt_i64_e64 s[14:15], 0, v[15:16]
	v_not_b32_e32 v26, v16
	v_lshlrev_b32_e32 v16, 29, v25
	v_xor_b32_e32 v29, s13, v29
	v_xor_b32_e32 v28, s12, v28
	v_ashrrev_i32_e32 v26, 31, v26
	v_cmp_gt_i64_e64 s[12:13], 0, v[15:16]
	v_not_b32_e32 v30, v16
	v_lshlrev_b32_e32 v16, 28, v25
	v_and_b32_e32 v29, exec_hi, v29
	v_and_b32_e32 v28, exec_lo, v28
	v_xor_b32_e32 v31, s15, v26
	v_xor_b32_e32 v26, s14, v26
	v_ashrrev_i32_e32 v30, 31, v30
	v_cmp_gt_i64_e64 s[14:15], 0, v[15:16]
	v_not_b32_e32 v32, v16
	v_lshlrev_b32_e32 v16, 27, v25
	v_and_b32_e32 v29, v29, v31
	v_and_b32_e32 v26, v28, v26
	v_xor_b32_e32 v28, s13, v30
	v_xor_b32_e32 v30, s12, v30
	v_ashrrev_i32_e32 v31, 31, v32
	v_cmp_gt_i64_e64 s[12:13], 0, v[15:16]
	v_not_b32_e32 v32, v16
	v_lshlrev_b32_e32 v16, 26, v25
	v_and_b32_e32 v28, v29, v28
	v_and_b32_e32 v26, v26, v30
	;; [unrolled: 8-line block ×3, first 2 shown]
	v_xor_b32_e32 v29, s13, v31
	v_xor_b32_e32 v30, s12, v31
	v_ashrrev_i32_e32 v31, 31, v32
	v_cmp_gt_i64_e64 s[12:13], 0, v[15:16]
	v_not_b32_e32 v32, v16
	v_mul_lo_u32 v27, v25, 36
	v_lshlrev_b32_e32 v16, 24, v25
	v_and_b32_e32 v25, v28, v29
	v_and_b32_e32 v26, v26, v30
	v_xor_b32_e32 v28, s15, v31
	v_xor_b32_e32 v29, s14, v31
	v_ashrrev_i32_e32 v30, 31, v32
	v_and_b32_e32 v25, v25, v28
	v_and_b32_e32 v26, v26, v29
	v_xor_b32_e32 v28, s13, v30
	v_xor_b32_e32 v29, s12, v30
	v_cmp_gt_i64_e64 s[14:15], 0, v[15:16]
	v_not_b32_e32 v16, v16
	v_and_b32_e32 v28, v25, v28
	v_and_b32_e32 v29, v26, v29
	v_ashrrev_i32_e32 v16, 31, v16
	v_xor_b32_e32 v30, s15, v16
	v_xor_b32_e32 v16, s14, v16
	v_and_b32_e32 v16, v29, v16
	v_mul_u32_u24_e32 v24, 20, v0
	ds_write2_b32 v24, v15, v15 offset0:8 offset1:9
	ds_write2_b32 v24, v15, v15 offset0:10 offset1:11
	ds_write_b32 v24, v15 offset:48
	s_waitcnt vmcnt(0) lgkmcnt(0)
	s_barrier
	; wave barrier
	v_mad_u64_u32 v[25:26], s[12:13], v17, v18, v[0:1]
	v_and_b32_e32 v17, v28, v30
	v_cmp_ne_u64_e64 s[12:13], 0, v[16:17]
	v_lshrrev_b32_e32 v18, 4, v25
	v_mbcnt_lo_u32_b32 v25, v16, 0
	v_mbcnt_hi_u32_b32 v25, v17, v25
	v_and_b32_e32 v18, 0xffffffc, v18
	v_cmp_eq_u32_e64 s[14:15], 0, v25
	s_and_b64 s[14:15], s[12:13], s[14:15]
	v_add_u32_e32 v27, v18, v27
	s_and_saveexec_b64 s[12:13], s[14:15]
; %bb.14:
	v_bcnt_u32_b32 v16, v16, 0
	v_bcnt_u32_b32 v16, v17, v16
	ds_write_b32 v27, v16 offset:32
; %bb.15:
	s_or_b64 exec, exec, s[12:13]
	v_lshrrev_b64 v[16:17], s48, v[3:4]
	v_and_b32_e32 v17, s33, v16
	v_mul_lo_u32 v16, v17, 36
	v_and_b32_e32 v29, 1, v17
	; wave barrier
	v_add_u32_e32 v28, v18, v16
	v_add_co_u32_e64 v16, s[12:13], -1, v29
	v_addc_co_u32_e64 v30, s[12:13], 0, -1, s[12:13]
	v_cmp_ne_u32_e64 s[12:13], 0, v29
	v_xor_b32_e32 v16, s12, v16
	v_xor_b32_e32 v29, s13, v30
	v_and_b32_e32 v30, exec_lo, v16
	v_lshlrev_b32_e32 v16, 30, v17
	v_cmp_gt_i64_e64 s[12:13], 0, v[15:16]
	v_not_b32_e32 v16, v16
	v_ashrrev_i32_e32 v16, 31, v16
	v_xor_b32_e32 v31, s13, v16
	v_xor_b32_e32 v16, s12, v16
	v_and_b32_e32 v30, v30, v16
	v_lshlrev_b32_e32 v16, 29, v17
	v_cmp_gt_i64_e64 s[12:13], 0, v[15:16]
	v_not_b32_e32 v16, v16
	v_and_b32_e32 v29, exec_hi, v29
	v_ashrrev_i32_e32 v16, 31, v16
	v_and_b32_e32 v29, v29, v31
	v_xor_b32_e32 v31, s13, v16
	v_xor_b32_e32 v16, s12, v16
	v_and_b32_e32 v30, v30, v16
	v_lshlrev_b32_e32 v16, 28, v17
	v_cmp_gt_i64_e64 s[12:13], 0, v[15:16]
	v_not_b32_e32 v16, v16
	v_ashrrev_i32_e32 v16, 31, v16
	v_and_b32_e32 v29, v29, v31
	v_xor_b32_e32 v31, s13, v16
	v_xor_b32_e32 v16, s12, v16
	v_and_b32_e32 v30, v30, v16
	v_lshlrev_b32_e32 v16, 27, v17
	v_cmp_gt_i64_e64 s[12:13], 0, v[15:16]
	v_not_b32_e32 v16, v16
	v_ashrrev_i32_e32 v16, 31, v16
	v_and_b32_e32 v29, v29, v31
	v_xor_b32_e32 v31, s13, v16
	v_xor_b32_e32 v16, s12, v16
	v_and_b32_e32 v30, v30, v16
	v_lshlrev_b32_e32 v16, 26, v17
	v_cmp_gt_i64_e64 s[12:13], 0, v[15:16]
	v_not_b32_e32 v16, v16
	v_ashrrev_i32_e32 v16, 31, v16
	v_and_b32_e32 v29, v29, v31
	v_xor_b32_e32 v31, s13, v16
	v_xor_b32_e32 v16, s12, v16
	v_and_b32_e32 v30, v30, v16
	v_lshlrev_b32_e32 v16, 25, v17
	v_cmp_gt_i64_e64 s[12:13], 0, v[15:16]
	v_not_b32_e32 v16, v16
	v_ashrrev_i32_e32 v16, 31, v16
	v_and_b32_e32 v29, v29, v31
	v_xor_b32_e32 v31, s13, v16
	v_xor_b32_e32 v16, s12, v16
	v_and_b32_e32 v30, v30, v16
	v_lshlrev_b32_e32 v16, 24, v17
	v_cmp_gt_i64_e64 s[12:13], 0, v[15:16]
	v_not_b32_e32 v15, v16
	v_ashrrev_i32_e32 v15, 31, v15
	v_xor_b32_e32 v16, s13, v15
	v_xor_b32_e32 v15, s12, v15
	ds_read_b32 v26, v28 offset:32
	v_and_b32_e32 v29, v29, v31
	v_and_b32_e32 v15, v30, v15
	;; [unrolled: 1-line block ×3, first 2 shown]
	v_mbcnt_lo_u32_b32 v17, v15, 0
	v_mbcnt_hi_u32_b32 v29, v16, v17
	v_cmp_ne_u64_e64 s[12:13], 0, v[15:16]
	v_cmp_eq_u32_e64 s[14:15], 0, v29
	s_and_b64 s[14:15], s[12:13], s[14:15]
	; wave barrier
	s_and_saveexec_b64 s[12:13], s[14:15]
	s_cbranch_execz .LBB24_17
; %bb.16:
	v_bcnt_u32_b32 v15, v15, 0
	v_bcnt_u32_b32 v15, v16, v15
	s_waitcnt lgkmcnt(0)
	v_add_u32_e32 v15, v26, v15
	ds_write_b32 v28, v15 offset:32
.LBB24_17:
	s_or_b64 exec, exec, s[12:13]
	v_lshrrev_b64 v[15:16], s48, v[9:10]
	v_and_b32_e32 v17, s33, v15
	v_mul_lo_u32 v16, v17, 36
	v_and_b32_e32 v32, 1, v17
	v_mov_b32_e32 v15, 0
	; wave barrier
	v_add_u32_e32 v31, v18, v16
	v_add_co_u32_e64 v16, s[12:13], -1, v32
	v_addc_co_u32_e64 v33, s[12:13], 0, -1, s[12:13]
	v_cmp_ne_u32_e64 s[12:13], 0, v32
	v_xor_b32_e32 v16, s12, v16
	v_xor_b32_e32 v32, s13, v33
	v_and_b32_e32 v33, exec_lo, v16
	v_lshlrev_b32_e32 v16, 30, v17
	v_cmp_gt_i64_e64 s[12:13], 0, v[15:16]
	v_not_b32_e32 v16, v16
	v_ashrrev_i32_e32 v16, 31, v16
	v_xor_b32_e32 v34, s13, v16
	v_xor_b32_e32 v16, s12, v16
	v_and_b32_e32 v33, v33, v16
	v_lshlrev_b32_e32 v16, 29, v17
	v_cmp_gt_i64_e64 s[12:13], 0, v[15:16]
	v_not_b32_e32 v16, v16
	v_and_b32_e32 v32, exec_hi, v32
	v_ashrrev_i32_e32 v16, 31, v16
	v_and_b32_e32 v32, v32, v34
	v_xor_b32_e32 v34, s13, v16
	v_xor_b32_e32 v16, s12, v16
	v_and_b32_e32 v33, v33, v16
	v_lshlrev_b32_e32 v16, 28, v17
	v_cmp_gt_i64_e64 s[12:13], 0, v[15:16]
	v_not_b32_e32 v16, v16
	v_ashrrev_i32_e32 v16, 31, v16
	v_and_b32_e32 v32, v32, v34
	v_xor_b32_e32 v34, s13, v16
	v_xor_b32_e32 v16, s12, v16
	v_and_b32_e32 v33, v33, v16
	v_lshlrev_b32_e32 v16, 27, v17
	v_cmp_gt_i64_e64 s[12:13], 0, v[15:16]
	v_not_b32_e32 v16, v16
	;; [unrolled: 8-line block ×5, first 2 shown]
	v_ashrrev_i32_e32 v16, 31, v16
	v_xor_b32_e32 v17, s13, v16
	v_xor_b32_e32 v16, s12, v16
	ds_read_b32 v30, v31 offset:32
	v_and_b32_e32 v32, v32, v34
	v_and_b32_e32 v16, v33, v16
	;; [unrolled: 1-line block ×3, first 2 shown]
	v_mbcnt_lo_u32_b32 v32, v16, 0
	v_mbcnt_hi_u32_b32 v32, v17, v32
	v_cmp_ne_u64_e64 s[12:13], 0, v[16:17]
	v_cmp_eq_u32_e64 s[14:15], 0, v32
	s_and_b64 s[14:15], s[12:13], s[14:15]
	; wave barrier
	s_and_saveexec_b64 s[12:13], s[14:15]
	s_cbranch_execz .LBB24_19
; %bb.18:
	v_bcnt_u32_b32 v16, v16, 0
	v_bcnt_u32_b32 v16, v17, v16
	s_waitcnt lgkmcnt(0)
	v_add_u32_e32 v16, v30, v16
	ds_write_b32 v31, v16 offset:32
.LBB24_19:
	s_or_b64 exec, exec, s[12:13]
	v_lshrrev_b64 v[16:17], s48, v[7:8]
	v_and_b32_e32 v17, s33, v16
	v_mul_lo_u32 v16, v17, 36
	v_and_b32_e32 v35, 1, v17
	; wave barrier
	v_add_u32_e32 v34, v18, v16
	v_add_co_u32_e64 v16, s[12:13], -1, v35
	v_addc_co_u32_e64 v36, s[12:13], 0, -1, s[12:13]
	v_cmp_ne_u32_e64 s[12:13], 0, v35
	v_xor_b32_e32 v16, s12, v16
	v_xor_b32_e32 v35, s13, v36
	v_and_b32_e32 v36, exec_lo, v16
	v_lshlrev_b32_e32 v16, 30, v17
	v_cmp_gt_i64_e64 s[12:13], 0, v[15:16]
	v_not_b32_e32 v16, v16
	v_ashrrev_i32_e32 v16, 31, v16
	v_xor_b32_e32 v37, s13, v16
	v_xor_b32_e32 v16, s12, v16
	v_and_b32_e32 v36, v36, v16
	v_lshlrev_b32_e32 v16, 29, v17
	v_cmp_gt_i64_e64 s[12:13], 0, v[15:16]
	v_not_b32_e32 v16, v16
	v_and_b32_e32 v35, exec_hi, v35
	v_ashrrev_i32_e32 v16, 31, v16
	v_and_b32_e32 v35, v35, v37
	v_xor_b32_e32 v37, s13, v16
	v_xor_b32_e32 v16, s12, v16
	v_and_b32_e32 v36, v36, v16
	v_lshlrev_b32_e32 v16, 28, v17
	v_cmp_gt_i64_e64 s[12:13], 0, v[15:16]
	v_not_b32_e32 v16, v16
	v_ashrrev_i32_e32 v16, 31, v16
	v_and_b32_e32 v35, v35, v37
	v_xor_b32_e32 v37, s13, v16
	v_xor_b32_e32 v16, s12, v16
	v_and_b32_e32 v36, v36, v16
	v_lshlrev_b32_e32 v16, 27, v17
	v_cmp_gt_i64_e64 s[12:13], 0, v[15:16]
	v_not_b32_e32 v16, v16
	;; [unrolled: 8-line block ×5, first 2 shown]
	v_ashrrev_i32_e32 v15, 31, v15
	v_xor_b32_e32 v16, s13, v15
	v_xor_b32_e32 v15, s12, v15
	ds_read_b32 v33, v34 offset:32
	v_and_b32_e32 v35, v35, v37
	v_and_b32_e32 v15, v36, v15
	;; [unrolled: 1-line block ×3, first 2 shown]
	v_mbcnt_lo_u32_b32 v17, v15, 0
	v_mbcnt_hi_u32_b32 v35, v16, v17
	v_cmp_ne_u64_e64 s[12:13], 0, v[15:16]
	v_cmp_eq_u32_e64 s[14:15], 0, v35
	s_and_b64 s[14:15], s[12:13], s[14:15]
	; wave barrier
	s_and_saveexec_b64 s[12:13], s[14:15]
	s_cbranch_execz .LBB24_21
; %bb.20:
	v_bcnt_u32_b32 v15, v15, 0
	v_bcnt_u32_b32 v15, v16, v15
	s_waitcnt lgkmcnt(0)
	v_add_u32_e32 v15, v33, v15
	ds_write_b32 v34, v15 offset:32
.LBB24_21:
	s_or_b64 exec, exec, s[12:13]
	v_lshrrev_b64 v[15:16], s48, v[13:14]
	v_and_b32_e32 v17, s33, v15
	v_mul_lo_u32 v16, v17, 36
	v_and_b32_e32 v38, 1, v17
	v_mov_b32_e32 v15, 0
	; wave barrier
	v_add_u32_e32 v37, v18, v16
	v_add_co_u32_e64 v16, s[12:13], -1, v38
	v_addc_co_u32_e64 v39, s[12:13], 0, -1, s[12:13]
	v_cmp_ne_u32_e64 s[12:13], 0, v38
	v_xor_b32_e32 v16, s12, v16
	v_xor_b32_e32 v38, s13, v39
	v_and_b32_e32 v39, exec_lo, v16
	v_lshlrev_b32_e32 v16, 30, v17
	v_cmp_gt_i64_e64 s[12:13], 0, v[15:16]
	v_not_b32_e32 v16, v16
	v_ashrrev_i32_e32 v16, 31, v16
	v_xor_b32_e32 v40, s13, v16
	v_xor_b32_e32 v16, s12, v16
	v_and_b32_e32 v39, v39, v16
	v_lshlrev_b32_e32 v16, 29, v17
	v_cmp_gt_i64_e64 s[12:13], 0, v[15:16]
	v_not_b32_e32 v16, v16
	v_and_b32_e32 v38, exec_hi, v38
	v_ashrrev_i32_e32 v16, 31, v16
	v_and_b32_e32 v38, v38, v40
	v_xor_b32_e32 v40, s13, v16
	v_xor_b32_e32 v16, s12, v16
	v_and_b32_e32 v39, v39, v16
	v_lshlrev_b32_e32 v16, 28, v17
	v_cmp_gt_i64_e64 s[12:13], 0, v[15:16]
	v_not_b32_e32 v16, v16
	v_ashrrev_i32_e32 v16, 31, v16
	v_and_b32_e32 v38, v38, v40
	v_xor_b32_e32 v40, s13, v16
	v_xor_b32_e32 v16, s12, v16
	v_and_b32_e32 v39, v39, v16
	v_lshlrev_b32_e32 v16, 27, v17
	v_cmp_gt_i64_e64 s[12:13], 0, v[15:16]
	v_not_b32_e32 v16, v16
	;; [unrolled: 8-line block ×5, first 2 shown]
	v_ashrrev_i32_e32 v16, 31, v16
	v_xor_b32_e32 v17, s13, v16
	v_xor_b32_e32 v16, s12, v16
	ds_read_b32 v36, v37 offset:32
	v_and_b32_e32 v38, v38, v40
	v_and_b32_e32 v16, v39, v16
	;; [unrolled: 1-line block ×3, first 2 shown]
	v_mbcnt_lo_u32_b32 v38, v16, 0
	v_mbcnt_hi_u32_b32 v38, v17, v38
	v_cmp_ne_u64_e64 s[12:13], 0, v[16:17]
	v_cmp_eq_u32_e64 s[14:15], 0, v38
	s_and_b64 s[14:15], s[12:13], s[14:15]
	; wave barrier
	s_and_saveexec_b64 s[12:13], s[14:15]
	s_cbranch_execz .LBB24_23
; %bb.22:
	v_bcnt_u32_b32 v16, v16, 0
	v_bcnt_u32_b32 v16, v17, v16
	s_waitcnt lgkmcnt(0)
	v_add_u32_e32 v16, v36, v16
	ds_write_b32 v37, v16 offset:32
.LBB24_23:
	s_or_b64 exec, exec, s[12:13]
	v_lshrrev_b64 v[16:17], s48, v[11:12]
	v_and_b32_e32 v17, s33, v16
	v_mul_lo_u32 v16, v17, 36
	v_and_b32_e32 v41, 1, v17
	; wave barrier
	v_add_u32_e32 v40, v18, v16
	v_add_co_u32_e64 v16, s[12:13], -1, v41
	v_addc_co_u32_e64 v18, s[12:13], 0, -1, s[12:13]
	v_cmp_ne_u32_e64 s[12:13], 0, v41
	v_xor_b32_e32 v16, s12, v16
	v_and_b32_e32 v41, exec_lo, v16
	v_lshlrev_b32_e32 v16, 30, v17
	v_xor_b32_e32 v18, s13, v18
	v_cmp_gt_i64_e64 s[12:13], 0, v[15:16]
	v_not_b32_e32 v16, v16
	v_ashrrev_i32_e32 v16, 31, v16
	v_xor_b32_e32 v42, s13, v16
	v_xor_b32_e32 v16, s12, v16
	v_and_b32_e32 v41, v41, v16
	v_lshlrev_b32_e32 v16, 29, v17
	v_cmp_gt_i64_e64 s[12:13], 0, v[15:16]
	v_not_b32_e32 v16, v16
	v_and_b32_e32 v18, exec_hi, v18
	v_ashrrev_i32_e32 v16, 31, v16
	v_and_b32_e32 v18, v18, v42
	v_xor_b32_e32 v42, s13, v16
	v_xor_b32_e32 v16, s12, v16
	v_and_b32_e32 v41, v41, v16
	v_lshlrev_b32_e32 v16, 28, v17
	v_cmp_gt_i64_e64 s[12:13], 0, v[15:16]
	v_not_b32_e32 v16, v16
	v_ashrrev_i32_e32 v16, 31, v16
	v_and_b32_e32 v18, v18, v42
	v_xor_b32_e32 v42, s13, v16
	v_xor_b32_e32 v16, s12, v16
	v_and_b32_e32 v41, v41, v16
	v_lshlrev_b32_e32 v16, 27, v17
	v_cmp_gt_i64_e64 s[12:13], 0, v[15:16]
	v_not_b32_e32 v16, v16
	;; [unrolled: 8-line block ×5, first 2 shown]
	v_ashrrev_i32_e32 v15, 31, v15
	v_xor_b32_e32 v16, s13, v15
	v_xor_b32_e32 v15, s12, v15
	ds_read_b32 v39, v40 offset:32
	v_and_b32_e32 v18, v18, v42
	v_and_b32_e32 v15, v41, v15
	;; [unrolled: 1-line block ×3, first 2 shown]
	v_mbcnt_lo_u32_b32 v17, v15, 0
	v_mbcnt_hi_u32_b32 v41, v16, v17
	v_cmp_ne_u64_e64 s[12:13], 0, v[15:16]
	v_cmp_eq_u32_e64 s[14:15], 0, v41
	s_and_b64 s[14:15], s[12:13], s[14:15]
	; wave barrier
	s_and_saveexec_b64 s[12:13], s[14:15]
	s_cbranch_execz .LBB24_25
; %bb.24:
	v_bcnt_u32_b32 v15, v15, 0
	v_bcnt_u32_b32 v15, v16, v15
	s_waitcnt lgkmcnt(0)
	v_add_u32_e32 v15, v39, v15
	ds_write_b32 v40, v15 offset:32
.LBB24_25:
	s_or_b64 exec, exec, s[12:13]
	; wave barrier
	s_waitcnt lgkmcnt(0)
	s_barrier
	ds_read2_b32 v[17:18], v24 offset0:8 offset1:9
	ds_read2_b32 v[15:16], v24 offset0:10 offset1:11
	ds_read_b32 v42, v24 offset:48
	v_min_u32_e32 v23, 0x1c0, v23
	v_or_b32_e32 v23, 63, v23
	s_waitcnt lgkmcnt(1)
	v_add3_u32 v43, v18, v17, v15
	s_waitcnt lgkmcnt(0)
	v_add3_u32 v42, v43, v16, v42
	v_and_b32_e32 v43, 15, v22
	v_cmp_ne_u32_e64 s[12:13], 0, v43
	v_mov_b32_dpp v44, v42 row_shr:1 row_mask:0xf bank_mask:0xf
	v_cndmask_b32_e64 v44, 0, v44, s[12:13]
	v_add_u32_e32 v42, v44, v42
	v_cmp_lt_u32_e64 s[12:13], 1, v43
	s_nop 0
	v_mov_b32_dpp v44, v42 row_shr:2 row_mask:0xf bank_mask:0xf
	v_cndmask_b32_e64 v44, 0, v44, s[12:13]
	v_add_u32_e32 v42, v42, v44
	v_cmp_lt_u32_e64 s[12:13], 3, v43
	s_nop 0
	;; [unrolled: 5-line block ×3, first 2 shown]
	v_mov_b32_dpp v44, v42 row_shr:8 row_mask:0xf bank_mask:0xf
	v_cndmask_b32_e64 v43, 0, v44, s[12:13]
	v_add_u32_e32 v42, v42, v43
	v_bfe_i32 v44, v22, 4, 1
	v_cmp_lt_u32_e64 s[12:13], 31, v22
	v_mov_b32_dpp v43, v42 row_bcast:15 row_mask:0xf bank_mask:0xf
	v_and_b32_e32 v43, v44, v43
	v_add_u32_e32 v42, v42, v43
	s_nop 1
	v_mov_b32_dpp v43, v42 row_bcast:31 row_mask:0xf bank_mask:0xf
	v_cndmask_b32_e64 v43, 0, v43, s[12:13]
	v_add_u32_e32 v42, v42, v43
	v_lshrrev_b32_e32 v43, 6, v0
	v_cmp_eq_u32_e64 s[12:13], v0, v23
	s_and_saveexec_b64 s[14:15], s[12:13]
; %bb.26:
	v_lshlrev_b32_e32 v23, 2, v43
	ds_write_b32 v23, v42
; %bb.27:
	s_or_b64 exec, exec, s[14:15]
	v_cmp_gt_u32_e64 s[12:13], 8, v0
	s_waitcnt lgkmcnt(0)
	s_barrier
	s_and_saveexec_b64 s[14:15], s[12:13]
	s_cbranch_execz .LBB24_29
; %bb.28:
	v_lshlrev_b32_e32 v23, 2, v0
	ds_read_b32 v44, v23
	v_and_b32_e32 v45, 7, v22
	v_cmp_ne_u32_e64 s[12:13], 0, v45
	s_waitcnt lgkmcnt(0)
	v_mov_b32_dpp v46, v44 row_shr:1 row_mask:0xf bank_mask:0xf
	v_cndmask_b32_e64 v46, 0, v46, s[12:13]
	v_add_u32_e32 v44, v46, v44
	v_cmp_lt_u32_e64 s[12:13], 1, v45
	s_nop 0
	v_mov_b32_dpp v46, v44 row_shr:2 row_mask:0xf bank_mask:0xf
	v_cndmask_b32_e64 v46, 0, v46, s[12:13]
	v_add_u32_e32 v44, v44, v46
	v_cmp_lt_u32_e64 s[12:13], 3, v45
	s_nop 0
	v_mov_b32_dpp v46, v44 row_shr:4 row_mask:0xf bank_mask:0xf
	v_cndmask_b32_e64 v45, 0, v46, s[12:13]
	v_add_u32_e32 v44, v44, v45
	ds_write_b32 v23, v44
.LBB24_29:
	s_or_b64 exec, exec, s[14:15]
	v_cmp_lt_u32_e64 s[12:13], 63, v0
	v_mov_b32_e32 v23, 0
	s_waitcnt lgkmcnt(0)
	s_barrier
	s_and_saveexec_b64 s[14:15], s[12:13]
; %bb.30:
	v_lshl_add_u32 v23, v43, 2, -4
	ds_read_b32 v23, v23
; %bb.31:
	s_or_b64 exec, exec, s[14:15]
	v_add_u32_e32 v43, -1, v22
	v_and_b32_e32 v44, 64, v22
	v_cmp_lt_i32_e64 s[12:13], v43, v44
	v_cndmask_b32_e64 v43, v43, v22, s[12:13]
	s_waitcnt lgkmcnt(0)
	v_add_u32_e32 v42, v23, v42
	v_lshlrev_b32_e32 v43, 2, v43
	ds_bpermute_b32 v42, v43, v42
	v_cmp_eq_u32_e64 s[12:13], 0, v22
	s_movk_i32 s16, 0x100
	v_cmp_gt_u32_e64 s[14:15], s16, v0
	s_waitcnt lgkmcnt(0)
	v_cndmask_b32_e64 v22, v42, v23, s[12:13]
	v_cmp_ne_u32_e64 s[12:13], 0, v0
	v_cndmask_b32_e64 v22, 0, v22, s[12:13]
	v_add_u32_e32 v17, v22, v17
	v_add_u32_e32 v18, v17, v18
	;; [unrolled: 1-line block ×4, first 2 shown]
	ds_write2_b32 v24, v22, v17 offset0:8 offset1:9
	ds_write2_b32 v24, v18, v15 offset0:10 offset1:11
	ds_write_b32 v24, v16 offset:48
	s_waitcnt lgkmcnt(0)
	s_barrier
	ds_read_b32 v24, v27 offset:32
	ds_read_b32 v28, v28 offset:32
	;; [unrolled: 1-line block ×6, first 2 shown]
	s_movk_i32 s12, 0xff
	v_mov_b32_e32 v15, 0
	v_cmp_lt_u32_e64 s[12:13], s12, v0
	v_mov_b32_e32 v16, 0
                                        ; implicit-def: $vgpr22
	s_and_saveexec_b64 s[18:19], s[14:15]
	s_cbranch_execz .LBB24_35
; %bb.32:
	v_mul_u32_u24_e32 v15, 36, v0
	ds_read_b32 v15, v15 offset:32
	v_add_u32_e32 v22, 1, v0
	v_cmp_ne_u32_e64 s[16:17], s16, v22
	v_mov_b32_e32 v16, 0xc00
	s_and_saveexec_b64 s[20:21], s[16:17]
; %bb.33:
	v_mul_u32_u24_e32 v16, 36, v22
	ds_read_b32 v16, v16 offset:32
; %bb.34:
	s_or_b64 exec, exec, s[20:21]
	s_waitcnt lgkmcnt(0)
	v_sub_u32_e32 v22, v16, v15
	v_mov_b32_e32 v16, 0
.LBB24_35:
	s_or_b64 exec, exec, s[18:19]
	v_lshlrev_b32_e32 v25, 3, v25
	s_waitcnt lgkmcnt(5)
	v_lshl_add_u32 v24, v24, 3, v25
	s_waitcnt lgkmcnt(0)
	s_barrier
	ds_write_b64 v24, v[5:6] offset:2048
	v_lshlrev_b32_e32 v5, 3, v29
	v_lshlrev_b32_e32 v6, 3, v26
	;; [unrolled: 1-line block ×3, first 2 shown]
	v_add3_u32 v25, v5, v6, v25
	ds_write_b64 v25, v[3:4] offset:2048
	v_lshlrev_b32_e32 v3, 3, v32
	v_lshlrev_b32_e32 v4, 3, v30
	v_lshlrev_b32_e32 v5, 3, v27
	v_add3_u32 v26, v3, v4, v5
	v_lshlrev_b32_e32 v3, 3, v35
	v_lshlrev_b32_e32 v4, 3, v33
	v_lshlrev_b32_e32 v5, 3, v23
	v_add3_u32 v27, v3, v4, v5
	v_lshlrev_b32_e32 v3, 3, v38
	v_lshlrev_b32_e32 v4, 3, v36
	v_lshlrev_b32_e32 v5, 3, v18
	v_add3_u32 v28, v3, v4, v5
	v_lshlrev_b32_e32 v3, 3, v41
	v_lshlrev_b32_e32 v4, 3, v39
	v_lshlrev_b32_e32 v5, 3, v17
	v_add3_u32 v29, v3, v4, v5
	v_mov_b32_e32 v4, 0
	v_lshlrev_b32_e32 v23, 3, v0
	ds_write_b64 v26, v[9:10] offset:2048
	ds_write_b64 v27, v[7:8] offset:2048
	;; [unrolled: 1-line block ×4, first 2 shown]
	s_waitcnt lgkmcnt(0)
	s_barrier
	s_and_saveexec_b64 s[16:17], s[14:15]
	s_cbranch_execz .LBB24_45
; %bb.36:
	v_lshl_add_u32 v3, s6, 8, v0
	v_lshlrev_b64 v[5:6], 2, v[3:4]
	v_mov_b32_e32 v9, s31
	v_add_co_u32_e64 v5, s[14:15], s30, v5
	v_addc_co_u32_e64 v6, s[14:15], v9, v6, s[14:15]
	v_or_b32_e32 v3, 2.0, v22
	s_mov_b64 s[18:19], 0
	s_brev_b32 s24, -4
	s_mov_b32 s25, s6
	v_mov_b32_e32 v10, 0
	global_store_dword v[5:6], v3, off
                                        ; implicit-def: $sgpr14_sgpr15
	s_branch .LBB24_39
.LBB24_37:                              ;   in Loop: Header=BB24_39 Depth=1
	s_or_b64 exec, exec, s[22:23]
.LBB24_38:                              ;   in Loop: Header=BB24_39 Depth=1
	s_or_b64 exec, exec, s[20:21]
	v_and_b32_e32 v7, 0x3fffffff, v3
	v_add_u32_e32 v10, v7, v10
	v_cmp_gt_i32_e64 s[14:15], -2.0, v3
	s_and_b64 s[20:21], exec, s[14:15]
	s_or_b64 s[18:19], s[20:21], s[18:19]
	s_andn2_b64 exec, exec, s[18:19]
	s_cbranch_execz .LBB24_44
.LBB24_39:                              ; =>This Loop Header: Depth=1
                                        ;     Child Loop BB24_42 Depth 2
	s_or_b64 s[14:15], s[14:15], exec
	s_cmp_eq_u32 s25, 0
	s_cbranch_scc1 .LBB24_43
; %bb.40:                               ;   in Loop: Header=BB24_39 Depth=1
	s_add_i32 s25, s25, -1
	v_lshl_or_b32 v3, s25, 8, v0
	v_lshlrev_b64 v[7:8], 2, v[3:4]
	v_add_co_u32_e64 v7, s[14:15], s30, v7
	v_addc_co_u32_e64 v8, s[14:15], v9, v8, s[14:15]
	global_load_dword v3, v[7:8], off glc
	s_waitcnt vmcnt(0)
	v_cmp_gt_u32_e64 s[14:15], 2.0, v3
	s_and_saveexec_b64 s[20:21], s[14:15]
	s_cbranch_execz .LBB24_38
; %bb.41:                               ;   in Loop: Header=BB24_39 Depth=1
	s_mov_b64 s[22:23], 0
.LBB24_42:                              ;   Parent Loop BB24_39 Depth=1
                                        ; =>  This Inner Loop Header: Depth=2
	global_load_dword v3, v[7:8], off glc
	s_waitcnt vmcnt(0)
	v_cmp_lt_u32_e64 s[14:15], s24, v3
	s_or_b64 s[22:23], s[14:15], s[22:23]
	s_andn2_b64 exec, exec, s[22:23]
	s_cbranch_execnz .LBB24_42
	s_branch .LBB24_37
.LBB24_43:                              ;   in Loop: Header=BB24_39 Depth=1
                                        ; implicit-def: $sgpr25
	s_and_b64 s[20:21], exec, s[14:15]
	s_or_b64 s[18:19], s[20:21], s[18:19]
	s_andn2_b64 exec, exec, s[18:19]
	s_cbranch_execnz .LBB24_39
.LBB24_44:
	s_or_b64 exec, exec, s[18:19]
	v_add_u32_e32 v3, v10, v22
	v_or_b32_e32 v3, 0x80000000, v3
	global_store_dword v[5:6], v3, off
	global_load_dwordx2 v[3:4], v23, s[44:45]
	v_sub_co_u32_e64 v5, s[14:15], v10, v15
	v_subb_co_u32_e64 v6, s[14:15], 0, v16, s[14:15]
	s_waitcnt vmcnt(0)
	v_add_co_u32_e64 v3, s[14:15], v5, v3
	v_addc_co_u32_e64 v4, s[14:15], v6, v4, s[14:15]
	ds_write_b64 v23, v[3:4]
.LBB24_45:
	s_or_b64 exec, exec, s[16:17]
	v_cmp_gt_u32_e64 s[14:15], s35, v0
	s_waitcnt lgkmcnt(0)
	s_barrier
	s_and_saveexec_b64 s[18:19], s[14:15]
	s_cbranch_execz .LBB24_47
; %bb.46:
	ds_read_b64 v[3:4], v23 offset:2048
	v_mov_b32_e32 v7, s39
	s_waitcnt lgkmcnt(0)
	v_lshrrev_b64 v[5:6], s48, v[3:4]
	v_and_b32_e32 v5, s33, v5
	v_lshlrev_b32_e32 v5, 3, v5
	ds_read_b64 v[5:6], v5
	s_waitcnt lgkmcnt(0)
	v_lshlrev_b64 v[5:6], 3, v[5:6]
	v_add_co_u32_e64 v5, s[16:17], s38, v5
	v_addc_co_u32_e64 v6, s[16:17], v7, v6, s[16:17]
	v_add_co_u32_e64 v5, s[16:17], v5, v23
	v_addc_co_u32_e64 v6, s[16:17], 0, v6, s[16:17]
	global_store_dwordx2 v[5:6], v[3:4], off
.LBB24_47:
	s_or_b64 exec, exec, s[18:19]
	v_or_b32_e32 v3, 0x200, v0
	v_cmp_gt_u32_e64 s[16:17], s35, v3
	v_lshlrev_b32_e32 v30, 3, v3
	s_and_saveexec_b64 s[20:21], s[16:17]
	s_cbranch_execz .LBB24_49
; %bb.48:
	ds_read_b64 v[3:4], v23 offset:6144
	v_mov_b32_e32 v7, s39
	s_waitcnt lgkmcnt(0)
	v_lshrrev_b64 v[5:6], s48, v[3:4]
	v_and_b32_e32 v5, s33, v5
	v_lshlrev_b32_e32 v5, 3, v5
	ds_read_b64 v[5:6], v5
	s_waitcnt lgkmcnt(0)
	v_lshlrev_b64 v[5:6], 3, v[5:6]
	v_add_co_u32_e64 v5, s[18:19], s38, v5
	v_addc_co_u32_e64 v6, s[18:19], v7, v6, s[18:19]
	v_add_co_u32_e64 v5, s[18:19], v5, v30
	v_addc_co_u32_e64 v6, s[18:19], 0, v6, s[18:19]
	global_store_dwordx2 v[5:6], v[3:4], off
.LBB24_49:
	s_or_b64 exec, exec, s[20:21]
	v_or_b32_e32 v3, 0x400, v0
	v_cmp_gt_u32_e64 s[18:19], s35, v3
	v_lshlrev_b32_e32 v31, 3, v3
	;; [unrolled: 22-line block ×5, first 2 shown]
	s_and_saveexec_b64 s[52:53], s[24:25]
	s_cbranch_execz .LBB24_57
; %bb.56:
	ds_read_b64 v[3:4], v23 offset:22528
	v_mov_b32_e32 v7, s39
	s_waitcnt lgkmcnt(0)
	v_lshrrev_b64 v[5:6], s48, v[3:4]
	v_and_b32_e32 v5, s33, v5
	v_lshlrev_b32_e32 v5, 3, v5
	ds_read_b64 v[5:6], v5
	s_waitcnt lgkmcnt(0)
	v_lshlrev_b64 v[5:6], 3, v[5:6]
	v_add_co_u32_e64 v5, s[28:29], s38, v5
	v_addc_co_u32_e64 v6, s[28:29], v7, v6, s[28:29]
	v_add_co_u32_e64 v5, s[28:29], v5, v34
	v_addc_co_u32_e64 v6, s[28:29], 0, v6, s[28:29]
	global_store_dwordx2 v[5:6], v[3:4], off
.LBB24_57:
	s_or_b64 exec, exec, s[52:53]
	s_add_u32 s28, s40, s50
	s_addc_u32 s29, s41, s51
	v_mov_b32_e32 v3, s29
	v_add_co_u32_e64 v4, s[28:29], s28, v20
	v_addc_co_u32_e64 v3, s[28:29], 0, v3, s[28:29]
	v_add_co_u32_e64 v17, s[28:29], v4, v21
	v_addc_co_u32_e64 v18, s[28:29], 0, v3, s[28:29]
                                        ; implicit-def: $vgpr3_vgpr4
	s_and_saveexec_b64 s[28:29], vcc
	s_xor_b64 s[28:29], exec, s[28:29]
	s_cbranch_execz .LBB24_63
; %bb.58:
	global_load_dwordx2 v[3:4], v[17:18], off
	s_or_b64 exec, exec, s[28:29]
                                        ; implicit-def: $vgpr5_vgpr6
	s_and_saveexec_b64 s[28:29], s[0:1]
	s_cbranch_execnz .LBB24_64
.LBB24_59:
	s_or_b64 exec, exec, s[28:29]
                                        ; implicit-def: $vgpr7_vgpr8
	s_and_saveexec_b64 s[0:1], s[2:3]
	s_cbranch_execz .LBB24_65
.LBB24_60:
	global_load_dwordx2 v[7:8], v[17:18], off offset:1024
	s_or_b64 exec, exec, s[0:1]
                                        ; implicit-def: $vgpr9_vgpr10
	s_and_saveexec_b64 s[0:1], s[26:27]
	s_cbranch_execnz .LBB24_66
.LBB24_61:
	s_or_b64 exec, exec, s[0:1]
                                        ; implicit-def: $vgpr11_vgpr12
	s_and_saveexec_b64 s[0:1], s[8:9]
	s_cbranch_execz .LBB24_67
.LBB24_62:
	global_load_dwordx2 v[11:12], v[17:18], off offset:2048
	s_or_b64 exec, exec, s[0:1]
                                        ; implicit-def: $vgpr13_vgpr14
	s_and_saveexec_b64 s[0:1], s[10:11]
	s_cbranch_execnz .LBB24_68
	s_branch .LBB24_69
.LBB24_63:
	s_or_b64 exec, exec, s[28:29]
                                        ; implicit-def: $vgpr5_vgpr6
	s_and_saveexec_b64 s[28:29], s[0:1]
	s_cbranch_execz .LBB24_59
.LBB24_64:
	global_load_dwordx2 v[5:6], v[17:18], off offset:512
	s_or_b64 exec, exec, s[28:29]
                                        ; implicit-def: $vgpr7_vgpr8
	s_and_saveexec_b64 s[0:1], s[2:3]
	s_cbranch_execnz .LBB24_60
.LBB24_65:
	s_or_b64 exec, exec, s[0:1]
                                        ; implicit-def: $vgpr9_vgpr10
	s_and_saveexec_b64 s[0:1], s[26:27]
	s_cbranch_execz .LBB24_61
.LBB24_66:
	global_load_dwordx2 v[9:10], v[17:18], off offset:1536
	s_or_b64 exec, exec, s[0:1]
                                        ; implicit-def: $vgpr11_vgpr12
	s_and_saveexec_b64 s[0:1], s[8:9]
	s_cbranch_execnz .LBB24_62
.LBB24_67:
	s_or_b64 exec, exec, s[0:1]
                                        ; implicit-def: $vgpr13_vgpr14
	s_and_saveexec_b64 s[0:1], s[10:11]
	s_cbranch_execz .LBB24_69
.LBB24_68:
	global_load_dwordx2 v[13:14], v[17:18], off offset:2560
.LBB24_69:
	s_or_b64 exec, exec, s[0:1]
	v_mov_b32_e32 v21, 0
	v_mov_b32_e32 v36, 0
	s_and_saveexec_b64 s[0:1], s[14:15]
	s_cbranch_execz .LBB24_71
; %bb.70:
	ds_read_b64 v[17:18], v23 offset:2048
	s_waitcnt lgkmcnt(0)
	v_lshrrev_b64 v[17:18], s48, v[17:18]
	v_and_b32_e32 v36, s33, v17
.LBB24_71:
	s_or_b64 exec, exec, s[0:1]
	s_and_saveexec_b64 s[0:1], s[16:17]
	s_cbranch_execz .LBB24_73
; %bb.72:
	ds_read_b64 v[17:18], v23 offset:6144
	s_waitcnt lgkmcnt(0)
	v_lshrrev_b64 v[17:18], s48, v[17:18]
	v_and_b32_e32 v21, s33, v17
.LBB24_73:
	s_or_b64 exec, exec, s[0:1]
	v_mov_b32_e32 v18, 0
	v_mov_b32_e32 v35, 0
	s_and_saveexec_b64 s[0:1], s[18:19]
	s_cbranch_execz .LBB24_75
; %bb.74:
	ds_read_b64 v[37:38], v23 offset:10240
	s_waitcnt lgkmcnt(0)
	v_lshrrev_b64 v[37:38], s48, v[37:38]
	v_and_b32_e32 v35, s33, v37
.LBB24_75:
	s_or_b64 exec, exec, s[0:1]
	s_and_saveexec_b64 s[0:1], s[20:21]
	s_cbranch_execz .LBB24_77
; %bb.76:
	ds_read_b64 v[17:18], v23 offset:14336
	s_waitcnt lgkmcnt(0)
	v_lshrrev_b64 v[17:18], s48, v[17:18]
	v_and_b32_e32 v18, s33, v17
.LBB24_77:
	;; [unrolled: 20-line block ×3, first 2 shown]
	s_or_b64 exec, exec, s[0:1]
	s_waitcnt vmcnt(0)
	s_barrier
	ds_write_b64 v24, v[3:4] offset:2048
	ds_write_b64 v25, v[5:6] offset:2048
	ds_write_b64 v26, v[7:8] offset:2048
	ds_write_b64 v27, v[9:10] offset:2048
	ds_write_b64 v28, v[11:12] offset:2048
	ds_write_b64 v29, v[13:14] offset:2048
	s_waitcnt lgkmcnt(0)
	s_barrier
	s_and_saveexec_b64 s[0:1], s[14:15]
	s_cbranch_execz .LBB24_87
; %bb.82:
	v_lshlrev_b32_e32 v3, 3, v36
	ds_read_b64 v[3:4], v3
	ds_read_b64 v[5:6], v23 offset:2048
	v_mov_b32_e32 v7, s43
	s_waitcnt lgkmcnt(1)
	v_lshlrev_b64 v[3:4], 3, v[3:4]
	v_add_co_u32_e32 v3, vcc, s42, v3
	v_addc_co_u32_e32 v4, vcc, v7, v4, vcc
	v_add_co_u32_e32 v3, vcc, v3, v23
	v_addc_co_u32_e32 v4, vcc, 0, v4, vcc
	s_waitcnt lgkmcnt(0)
	global_store_dwordx2 v[3:4], v[5:6], off
	s_or_b64 exec, exec, s[0:1]
	s_and_saveexec_b64 s[0:1], s[16:17]
	s_cbranch_execnz .LBB24_88
.LBB24_83:
	s_or_b64 exec, exec, s[0:1]
	s_and_saveexec_b64 s[0:1], s[18:19]
	s_cbranch_execz .LBB24_89
.LBB24_84:
	v_lshlrev_b32_e32 v3, 3, v35
	ds_read_b64 v[3:4], v3
	ds_read_b64 v[5:6], v23 offset:10240
	v_mov_b32_e32 v7, s43
	s_waitcnt lgkmcnt(1)
	v_lshlrev_b64 v[3:4], 3, v[3:4]
	v_add_co_u32_e32 v3, vcc, s42, v3
	v_addc_co_u32_e32 v4, vcc, v7, v4, vcc
	v_add_co_u32_e32 v3, vcc, v3, v31
	v_addc_co_u32_e32 v4, vcc, 0, v4, vcc
	s_waitcnt lgkmcnt(0)
	global_store_dwordx2 v[3:4], v[5:6], off
	s_or_b64 exec, exec, s[0:1]
	s_and_saveexec_b64 s[0:1], s[20:21]
	s_cbranch_execnz .LBB24_90
.LBB24_85:
	s_or_b64 exec, exec, s[0:1]
	s_and_saveexec_b64 s[0:1], s[22:23]
	s_cbranch_execz .LBB24_91
.LBB24_86:
	v_lshlrev_b32_e32 v3, 3, v20
	ds_read_b64 v[3:4], v3
	ds_read_b64 v[5:6], v23 offset:18432
	v_mov_b32_e32 v7, s43
	s_waitcnt lgkmcnt(1)
	v_lshlrev_b64 v[3:4], 3, v[3:4]
	v_add_co_u32_e32 v3, vcc, s42, v3
	v_addc_co_u32_e32 v4, vcc, v7, v4, vcc
	v_add_co_u32_e32 v3, vcc, v3, v33
	v_addc_co_u32_e32 v4, vcc, 0, v4, vcc
	s_waitcnt lgkmcnt(0)
	global_store_dwordx2 v[3:4], v[5:6], off
	s_or_b64 exec, exec, s[0:1]
	s_and_saveexec_b64 s[0:1], s[24:25]
	s_cbranch_execnz .LBB24_92
	s_branch .LBB24_93
.LBB24_87:
	s_or_b64 exec, exec, s[0:1]
	s_and_saveexec_b64 s[0:1], s[16:17]
	s_cbranch_execz .LBB24_83
.LBB24_88:
	v_lshlrev_b32_e32 v3, 3, v21
	ds_read_b64 v[3:4], v3
	ds_read_b64 v[5:6], v23 offset:6144
	v_mov_b32_e32 v7, s43
	s_waitcnt lgkmcnt(1)
	v_lshlrev_b64 v[3:4], 3, v[3:4]
	v_add_co_u32_e32 v3, vcc, s42, v3
	v_addc_co_u32_e32 v4, vcc, v7, v4, vcc
	v_add_co_u32_e32 v3, vcc, v3, v30
	v_addc_co_u32_e32 v4, vcc, 0, v4, vcc
	s_waitcnt lgkmcnt(0)
	global_store_dwordx2 v[3:4], v[5:6], off
	s_or_b64 exec, exec, s[0:1]
	s_and_saveexec_b64 s[0:1], s[18:19]
	s_cbranch_execnz .LBB24_84
.LBB24_89:
	s_or_b64 exec, exec, s[0:1]
	s_and_saveexec_b64 s[0:1], s[20:21]
	s_cbranch_execz .LBB24_85
.LBB24_90:
	v_lshlrev_b32_e32 v3, 3, v18
	ds_read_b64 v[3:4], v3
	ds_read_b64 v[5:6], v23 offset:14336
	v_mov_b32_e32 v7, s43
	s_waitcnt lgkmcnt(1)
	v_lshlrev_b64 v[3:4], 3, v[3:4]
	v_add_co_u32_e32 v3, vcc, s42, v3
	v_addc_co_u32_e32 v4, vcc, v7, v4, vcc
	v_add_co_u32_e32 v3, vcc, v3, v32
	v_addc_co_u32_e32 v4, vcc, 0, v4, vcc
	s_waitcnt lgkmcnt(0)
	global_store_dwordx2 v[3:4], v[5:6], off
	s_or_b64 exec, exec, s[0:1]
	s_and_saveexec_b64 s[0:1], s[22:23]
	s_cbranch_execnz .LBB24_86
.LBB24_91:
	s_or_b64 exec, exec, s[0:1]
	s_and_saveexec_b64 s[0:1], s[24:25]
	s_cbranch_execz .LBB24_93
.LBB24_92:
	v_lshlrev_b32_e32 v3, 3, v17
	ds_read_b64 v[3:4], v3
	ds_read_b64 v[5:6], v23 offset:22528
	v_mov_b32_e32 v7, s43
	s_waitcnt lgkmcnt(1)
	v_lshlrev_b64 v[3:4], 3, v[3:4]
	v_add_co_u32_e32 v3, vcc, s42, v3
	v_addc_co_u32_e32 v4, vcc, v7, v4, vcc
	v_add_co_u32_e32 v3, vcc, v3, v34
	v_addc_co_u32_e32 v4, vcc, 0, v4, vcc
	s_waitcnt lgkmcnt(0)
	global_store_dwordx2 v[3:4], v[5:6], off
.LBB24_93:
	s_or_b64 exec, exec, s[0:1]
	s_add_i32 s7, s7, -1
	s_cmp_eq_u32 s6, s7
	s_cselect_b64 s[0:1], -1, 0
	s_xor_b64 s[2:3], s[12:13], -1
	s_and_b64 s[2:3], s[2:3], s[0:1]
	s_and_saveexec_b64 s[0:1], s[2:3]
	s_cbranch_execz .LBB24_95
; %bb.94:
	ds_read_b64 v[3:4], v23
	v_add_co_u32_e32 v5, vcc, v15, v22
	v_addc_co_u32_e32 v6, vcc, 0, v16, vcc
	s_waitcnt lgkmcnt(0)
	v_add_co_u32_e32 v3, vcc, v5, v3
	v_addc_co_u32_e32 v4, vcc, v6, v4, vcc
	global_store_dwordx2 v23, v[3:4], s[46:47]
.LBB24_95:
	s_or_b64 exec, exec, s[0:1]
	s_mov_b64 s[0:1], 0
.LBB24_96:
	s_and_b64 vcc, exec, s[0:1]
	s_cbranch_vccz .LBB24_131
; %bb.97:
	s_mov_b32 s35, 0
	s_lshl_b64 s[8:9], s[34:35], 3
	v_mbcnt_hi_u32_b32 v19, -1, v19
	s_add_u32 s0, s36, s8
	v_lshlrev_b32_e32 v17, 3, v19
	v_add_co_u32_e32 v5, vcc, s0, v17
	s_load_dword s7, s[4:5], 0x50
	s_load_dword s0, s[4:5], 0x5c
	s_addc_u32 s1, s37, s9
	v_and_b32_e32 v21, 0x1c0, v0
	v_mov_b32_e32 v4, s1
	s_add_u32 s1, s4, 0x50
	v_mul_u32_u24_e32 v3, 6, v21
	s_addc_u32 s2, s5, 0
	s_waitcnt lgkmcnt(0)
	s_lshr_b32 s3, s0, 16
	v_addc_co_u32_e32 v4, vcc, 0, v4, vcc
	v_lshlrev_b32_e32 v18, 3, v3
	s_cmp_lt_u32 s6, s7
	v_add_co_u32_e32 v14, vcc, v5, v18
	s_cselect_b32 s0, 12, 18
	v_addc_co_u32_e32 v15, vcc, 0, v4, vcc
	s_add_u32 s0, s1, s0
	v_mov_b32_e32 v13, 0
	global_load_dwordx2 v[3:4], v[14:15], off
	s_addc_u32 s1, s2, 0
	v_mul_u32_u24_e32 v20, 20, v0
	global_load_ushort v16, v13, s[0:1]
	ds_write2_b32 v20, v13, v13 offset0:8 offset1:9
	ds_write2_b32 v20, v13, v13 offset0:10 offset1:11
	ds_write_b32 v20, v13 offset:48
	v_mad_u32_u24 v22, v2, s3, v1
	global_load_dwordx2 v[11:12], v[14:15], off offset:512
	global_load_dwordx2 v[9:10], v[14:15], off offset:1024
	;; [unrolled: 1-line block ×5, first 2 shown]
	s_lshl_b32 s0, -1, s49
	s_not_b32 s14, s0
	s_waitcnt vmcnt(0) lgkmcnt(0)
	s_barrier
	; wave barrier
	v_lshrrev_b64 v[14:15], s48, v[3:4]
	v_and_b32_e32 v23, s14, v14
	v_lshlrev_b32_e32 v14, 30, v23
	v_mul_lo_u32 v24, v23, 36
	v_mad_u64_u32 v[15:16], s[0:1], v22, v16, v[0:1]
	v_and_b32_e32 v16, 1, v23
	v_add_co_u32_e32 v22, vcc, -1, v16
	v_addc_co_u32_e64 v25, s[0:1], 0, -1, vcc
	v_cmp_ne_u32_e32 vcc, 0, v16
	v_cmp_gt_i64_e64 s[0:1], 0, v[13:14]
	v_not_b32_e32 v16, v14
	v_lshlrev_b32_e32 v14, 29, v23
	v_xor_b32_e32 v25, vcc_hi, v25
	v_xor_b32_e32 v22, vcc_lo, v22
	v_ashrrev_i32_e32 v16, 31, v16
	v_cmp_gt_i64_e32 vcc, 0, v[13:14]
	v_not_b32_e32 v26, v14
	v_lshlrev_b32_e32 v14, 28, v23
	v_and_b32_e32 v25, exec_hi, v25
	v_and_b32_e32 v22, exec_lo, v22
	v_xor_b32_e32 v27, s1, v16
	v_xor_b32_e32 v16, s0, v16
	v_ashrrev_i32_e32 v26, 31, v26
	v_cmp_gt_i64_e64 s[0:1], 0, v[13:14]
	v_not_b32_e32 v28, v14
	v_lshlrev_b32_e32 v14, 27, v23
	v_lshrrev_b32_e32 v15, 4, v15
	v_and_b32_e32 v25, v25, v27
	v_and_b32_e32 v22, v22, v16
	v_xor_b32_e32 v27, vcc_hi, v26
	v_xor_b32_e32 v26, vcc_lo, v26
	v_ashrrev_i32_e32 v28, 31, v28
	v_cmp_gt_i64_e32 vcc, 0, v[13:14]
	v_not_b32_e32 v29, v14
	v_lshlrev_b32_e32 v14, 26, v23
	v_and_b32_e32 v16, 0xffffffc, v15
	v_and_b32_e32 v15, v25, v27
	;; [unrolled: 1-line block ×3, first 2 shown]
	v_xor_b32_e32 v25, s1, v28
	v_xor_b32_e32 v26, s0, v28
	v_ashrrev_i32_e32 v27, 31, v29
	v_cmp_gt_i64_e64 s[0:1], 0, v[13:14]
	v_not_b32_e32 v14, v14
	v_and_b32_e32 v15, v15, v25
	v_and_b32_e32 v22, v22, v26
	v_xor_b32_e32 v25, vcc_hi, v27
	v_xor_b32_e32 v26, vcc_lo, v27
	v_ashrrev_i32_e32 v14, 31, v14
	v_and_b32_e32 v15, v15, v25
	v_and_b32_e32 v22, v22, v26
	v_xor_b32_e32 v25, s1, v14
	v_xor_b32_e32 v14, s0, v14
	v_and_b32_e32 v22, v22, v14
	v_lshlrev_b32_e32 v14, 25, v23
	v_cmp_gt_i64_e32 vcc, 0, v[13:14]
	v_not_b32_e32 v14, v14
	v_ashrrev_i32_e32 v14, 31, v14
	v_and_b32_e32 v15, v15, v25
	v_xor_b32_e32 v25, vcc_hi, v14
	v_xor_b32_e32 v14, vcc_lo, v14
	v_and_b32_e32 v22, v22, v14
	v_lshlrev_b32_e32 v14, 24, v23
	v_cmp_gt_i64_e32 vcc, 0, v[13:14]
	v_not_b32_e32 v14, v14
	v_ashrrev_i32_e32 v14, 31, v14
	v_xor_b32_e32 v23, vcc_hi, v14
	v_xor_b32_e32 v14, vcc_lo, v14
	v_and_b32_e32 v15, v15, v25
	v_and_b32_e32 v14, v22, v14
	v_and_b32_e32 v15, v15, v23
	v_mbcnt_lo_u32_b32 v22, v14, 0
	v_mbcnt_hi_u32_b32 v22, v15, v22
	v_cmp_ne_u64_e32 vcc, 0, v[14:15]
	v_cmp_eq_u32_e64 s[0:1], 0, v22
	s_and_b64 s[2:3], vcc, s[0:1]
	v_add_u32_e32 v24, v16, v24
	s_and_saveexec_b64 s[0:1], s[2:3]
; %bb.98:
	v_bcnt_u32_b32 v14, v14, 0
	v_bcnt_u32_b32 v14, v15, v14
	ds_write_b32 v24, v14 offset:32
; %bb.99:
	s_or_b64 exec, exec, s[0:1]
	v_lshrrev_b64 v[14:15], s48, v[11:12]
	v_and_b32_e32 v15, s14, v14
	v_mul_lo_u32 v14, v15, 36
	v_and_b32_e32 v26, 1, v15
	; wave barrier
	v_add_u32_e32 v25, v16, v14
	v_add_co_u32_e32 v14, vcc, -1, v26
	v_addc_co_u32_e64 v27, s[0:1], 0, -1, vcc
	v_cmp_ne_u32_e32 vcc, 0, v26
	v_xor_b32_e32 v14, vcc_lo, v14
	v_xor_b32_e32 v26, vcc_hi, v27
	v_and_b32_e32 v27, exec_lo, v14
	v_lshlrev_b32_e32 v14, 30, v15
	v_cmp_gt_i64_e32 vcc, 0, v[13:14]
	v_not_b32_e32 v14, v14
	v_ashrrev_i32_e32 v14, 31, v14
	v_xor_b32_e32 v28, vcc_hi, v14
	v_xor_b32_e32 v14, vcc_lo, v14
	v_and_b32_e32 v27, v27, v14
	v_lshlrev_b32_e32 v14, 29, v15
	v_cmp_gt_i64_e32 vcc, 0, v[13:14]
	v_not_b32_e32 v14, v14
	v_and_b32_e32 v26, exec_hi, v26
	v_ashrrev_i32_e32 v14, 31, v14
	v_and_b32_e32 v26, v26, v28
	v_xor_b32_e32 v28, vcc_hi, v14
	v_xor_b32_e32 v14, vcc_lo, v14
	v_and_b32_e32 v27, v27, v14
	v_lshlrev_b32_e32 v14, 28, v15
	v_cmp_gt_i64_e32 vcc, 0, v[13:14]
	v_not_b32_e32 v14, v14
	v_ashrrev_i32_e32 v14, 31, v14
	v_and_b32_e32 v26, v26, v28
	v_xor_b32_e32 v28, vcc_hi, v14
	v_xor_b32_e32 v14, vcc_lo, v14
	v_and_b32_e32 v27, v27, v14
	v_lshlrev_b32_e32 v14, 27, v15
	v_cmp_gt_i64_e32 vcc, 0, v[13:14]
	v_not_b32_e32 v14, v14
	v_ashrrev_i32_e32 v14, 31, v14
	v_and_b32_e32 v26, v26, v28
	v_xor_b32_e32 v28, vcc_hi, v14
	v_xor_b32_e32 v14, vcc_lo, v14
	v_and_b32_e32 v27, v27, v14
	v_lshlrev_b32_e32 v14, 26, v15
	v_cmp_gt_i64_e32 vcc, 0, v[13:14]
	v_not_b32_e32 v14, v14
	v_ashrrev_i32_e32 v14, 31, v14
	v_and_b32_e32 v26, v26, v28
	v_xor_b32_e32 v28, vcc_hi, v14
	v_xor_b32_e32 v14, vcc_lo, v14
	v_and_b32_e32 v27, v27, v14
	v_lshlrev_b32_e32 v14, 25, v15
	v_cmp_gt_i64_e32 vcc, 0, v[13:14]
	v_not_b32_e32 v14, v14
	v_ashrrev_i32_e32 v14, 31, v14
	v_and_b32_e32 v26, v26, v28
	v_xor_b32_e32 v28, vcc_hi, v14
	v_xor_b32_e32 v14, vcc_lo, v14
	v_and_b32_e32 v27, v27, v14
	v_lshlrev_b32_e32 v14, 24, v15
	v_cmp_gt_i64_e32 vcc, 0, v[13:14]
	v_not_b32_e32 v13, v14
	v_ashrrev_i32_e32 v13, 31, v13
	v_xor_b32_e32 v14, vcc_hi, v13
	v_xor_b32_e32 v13, vcc_lo, v13
	ds_read_b32 v23, v25 offset:32
	v_and_b32_e32 v26, v26, v28
	v_and_b32_e32 v13, v27, v13
	;; [unrolled: 1-line block ×3, first 2 shown]
	v_mbcnt_lo_u32_b32 v15, v13, 0
	v_mbcnt_hi_u32_b32 v26, v14, v15
	v_cmp_ne_u64_e32 vcc, 0, v[13:14]
	v_cmp_eq_u32_e64 s[0:1], 0, v26
	s_and_b64 s[2:3], vcc, s[0:1]
	; wave barrier
	s_and_saveexec_b64 s[0:1], s[2:3]
	s_cbranch_execz .LBB24_101
; %bb.100:
	v_bcnt_u32_b32 v13, v13, 0
	v_bcnt_u32_b32 v13, v14, v13
	s_waitcnt lgkmcnt(0)
	v_add_u32_e32 v13, v23, v13
	ds_write_b32 v25, v13 offset:32
.LBB24_101:
	s_or_b64 exec, exec, s[0:1]
	v_lshrrev_b64 v[13:14], s48, v[9:10]
	v_and_b32_e32 v15, s14, v13
	v_mul_lo_u32 v14, v15, 36
	v_and_b32_e32 v29, 1, v15
	v_mov_b32_e32 v13, 0
	; wave barrier
	v_add_u32_e32 v28, v16, v14
	v_add_co_u32_e32 v14, vcc, -1, v29
	v_addc_co_u32_e64 v30, s[0:1], 0, -1, vcc
	v_cmp_ne_u32_e32 vcc, 0, v29
	v_xor_b32_e32 v14, vcc_lo, v14
	v_xor_b32_e32 v29, vcc_hi, v30
	v_and_b32_e32 v30, exec_lo, v14
	v_lshlrev_b32_e32 v14, 30, v15
	v_cmp_gt_i64_e32 vcc, 0, v[13:14]
	v_not_b32_e32 v14, v14
	v_ashrrev_i32_e32 v14, 31, v14
	v_xor_b32_e32 v31, vcc_hi, v14
	v_xor_b32_e32 v14, vcc_lo, v14
	v_and_b32_e32 v30, v30, v14
	v_lshlrev_b32_e32 v14, 29, v15
	v_cmp_gt_i64_e32 vcc, 0, v[13:14]
	v_not_b32_e32 v14, v14
	v_and_b32_e32 v29, exec_hi, v29
	v_ashrrev_i32_e32 v14, 31, v14
	v_and_b32_e32 v29, v29, v31
	v_xor_b32_e32 v31, vcc_hi, v14
	v_xor_b32_e32 v14, vcc_lo, v14
	v_and_b32_e32 v30, v30, v14
	v_lshlrev_b32_e32 v14, 28, v15
	v_cmp_gt_i64_e32 vcc, 0, v[13:14]
	v_not_b32_e32 v14, v14
	v_ashrrev_i32_e32 v14, 31, v14
	v_and_b32_e32 v29, v29, v31
	v_xor_b32_e32 v31, vcc_hi, v14
	v_xor_b32_e32 v14, vcc_lo, v14
	v_and_b32_e32 v30, v30, v14
	v_lshlrev_b32_e32 v14, 27, v15
	v_cmp_gt_i64_e32 vcc, 0, v[13:14]
	v_not_b32_e32 v14, v14
	;; [unrolled: 8-line block ×5, first 2 shown]
	v_ashrrev_i32_e32 v14, 31, v14
	v_xor_b32_e32 v15, vcc_hi, v14
	v_xor_b32_e32 v14, vcc_lo, v14
	ds_read_b32 v27, v28 offset:32
	v_and_b32_e32 v29, v29, v31
	v_and_b32_e32 v14, v30, v14
	;; [unrolled: 1-line block ×3, first 2 shown]
	v_mbcnt_lo_u32_b32 v29, v14, 0
	v_mbcnt_hi_u32_b32 v29, v15, v29
	v_cmp_ne_u64_e32 vcc, 0, v[14:15]
	v_cmp_eq_u32_e64 s[0:1], 0, v29
	s_and_b64 s[2:3], vcc, s[0:1]
	; wave barrier
	s_and_saveexec_b64 s[0:1], s[2:3]
	s_cbranch_execz .LBB24_103
; %bb.102:
	v_bcnt_u32_b32 v14, v14, 0
	v_bcnt_u32_b32 v14, v15, v14
	s_waitcnt lgkmcnt(0)
	v_add_u32_e32 v14, v27, v14
	ds_write_b32 v28, v14 offset:32
.LBB24_103:
	s_or_b64 exec, exec, s[0:1]
	v_lshrrev_b64 v[14:15], s48, v[7:8]
	v_and_b32_e32 v15, s14, v14
	v_mul_lo_u32 v14, v15, 36
	v_and_b32_e32 v32, 1, v15
	; wave barrier
	v_add_u32_e32 v31, v16, v14
	v_add_co_u32_e32 v14, vcc, -1, v32
	v_addc_co_u32_e64 v33, s[0:1], 0, -1, vcc
	v_cmp_ne_u32_e32 vcc, 0, v32
	v_xor_b32_e32 v14, vcc_lo, v14
	v_xor_b32_e32 v32, vcc_hi, v33
	v_and_b32_e32 v33, exec_lo, v14
	v_lshlrev_b32_e32 v14, 30, v15
	v_cmp_gt_i64_e32 vcc, 0, v[13:14]
	v_not_b32_e32 v14, v14
	v_ashrrev_i32_e32 v14, 31, v14
	v_xor_b32_e32 v34, vcc_hi, v14
	v_xor_b32_e32 v14, vcc_lo, v14
	v_and_b32_e32 v33, v33, v14
	v_lshlrev_b32_e32 v14, 29, v15
	v_cmp_gt_i64_e32 vcc, 0, v[13:14]
	v_not_b32_e32 v14, v14
	v_and_b32_e32 v32, exec_hi, v32
	v_ashrrev_i32_e32 v14, 31, v14
	v_and_b32_e32 v32, v32, v34
	v_xor_b32_e32 v34, vcc_hi, v14
	v_xor_b32_e32 v14, vcc_lo, v14
	v_and_b32_e32 v33, v33, v14
	v_lshlrev_b32_e32 v14, 28, v15
	v_cmp_gt_i64_e32 vcc, 0, v[13:14]
	v_not_b32_e32 v14, v14
	v_ashrrev_i32_e32 v14, 31, v14
	v_and_b32_e32 v32, v32, v34
	v_xor_b32_e32 v34, vcc_hi, v14
	v_xor_b32_e32 v14, vcc_lo, v14
	v_and_b32_e32 v33, v33, v14
	v_lshlrev_b32_e32 v14, 27, v15
	v_cmp_gt_i64_e32 vcc, 0, v[13:14]
	v_not_b32_e32 v14, v14
	;; [unrolled: 8-line block ×5, first 2 shown]
	v_ashrrev_i32_e32 v13, 31, v13
	v_xor_b32_e32 v14, vcc_hi, v13
	v_xor_b32_e32 v13, vcc_lo, v13
	ds_read_b32 v30, v31 offset:32
	v_and_b32_e32 v32, v32, v34
	v_and_b32_e32 v13, v33, v13
	;; [unrolled: 1-line block ×3, first 2 shown]
	v_mbcnt_lo_u32_b32 v15, v13, 0
	v_mbcnt_hi_u32_b32 v32, v14, v15
	v_cmp_ne_u64_e32 vcc, 0, v[13:14]
	v_cmp_eq_u32_e64 s[0:1], 0, v32
	s_and_b64 s[2:3], vcc, s[0:1]
	; wave barrier
	s_and_saveexec_b64 s[0:1], s[2:3]
	s_cbranch_execz .LBB24_105
; %bb.104:
	v_bcnt_u32_b32 v13, v13, 0
	v_bcnt_u32_b32 v13, v14, v13
	s_waitcnt lgkmcnt(0)
	v_add_u32_e32 v13, v30, v13
	ds_write_b32 v31, v13 offset:32
.LBB24_105:
	s_or_b64 exec, exec, s[0:1]
	v_lshrrev_b64 v[13:14], s48, v[5:6]
	v_and_b32_e32 v15, s14, v13
	v_mul_lo_u32 v14, v15, 36
	v_and_b32_e32 v35, 1, v15
	v_mov_b32_e32 v13, 0
	; wave barrier
	v_add_u32_e32 v34, v16, v14
	v_add_co_u32_e32 v14, vcc, -1, v35
	v_addc_co_u32_e64 v36, s[0:1], 0, -1, vcc
	v_cmp_ne_u32_e32 vcc, 0, v35
	v_xor_b32_e32 v14, vcc_lo, v14
	v_xor_b32_e32 v35, vcc_hi, v36
	v_and_b32_e32 v36, exec_lo, v14
	v_lshlrev_b32_e32 v14, 30, v15
	v_cmp_gt_i64_e32 vcc, 0, v[13:14]
	v_not_b32_e32 v14, v14
	v_ashrrev_i32_e32 v14, 31, v14
	v_xor_b32_e32 v37, vcc_hi, v14
	v_xor_b32_e32 v14, vcc_lo, v14
	v_and_b32_e32 v36, v36, v14
	v_lshlrev_b32_e32 v14, 29, v15
	v_cmp_gt_i64_e32 vcc, 0, v[13:14]
	v_not_b32_e32 v14, v14
	v_and_b32_e32 v35, exec_hi, v35
	v_ashrrev_i32_e32 v14, 31, v14
	v_and_b32_e32 v35, v35, v37
	v_xor_b32_e32 v37, vcc_hi, v14
	v_xor_b32_e32 v14, vcc_lo, v14
	v_and_b32_e32 v36, v36, v14
	v_lshlrev_b32_e32 v14, 28, v15
	v_cmp_gt_i64_e32 vcc, 0, v[13:14]
	v_not_b32_e32 v14, v14
	v_ashrrev_i32_e32 v14, 31, v14
	v_and_b32_e32 v35, v35, v37
	v_xor_b32_e32 v37, vcc_hi, v14
	v_xor_b32_e32 v14, vcc_lo, v14
	v_and_b32_e32 v36, v36, v14
	v_lshlrev_b32_e32 v14, 27, v15
	v_cmp_gt_i64_e32 vcc, 0, v[13:14]
	v_not_b32_e32 v14, v14
	;; [unrolled: 8-line block ×5, first 2 shown]
	v_ashrrev_i32_e32 v14, 31, v14
	v_xor_b32_e32 v15, vcc_hi, v14
	v_xor_b32_e32 v14, vcc_lo, v14
	ds_read_b32 v33, v34 offset:32
	v_and_b32_e32 v35, v35, v37
	v_and_b32_e32 v14, v36, v14
	v_and_b32_e32 v15, v35, v15
	v_mbcnt_lo_u32_b32 v35, v14, 0
	v_mbcnt_hi_u32_b32 v35, v15, v35
	v_cmp_ne_u64_e32 vcc, 0, v[14:15]
	v_cmp_eq_u32_e64 s[0:1], 0, v35
	s_and_b64 s[2:3], vcc, s[0:1]
	; wave barrier
	s_and_saveexec_b64 s[0:1], s[2:3]
	s_cbranch_execz .LBB24_107
; %bb.106:
	v_bcnt_u32_b32 v14, v14, 0
	v_bcnt_u32_b32 v14, v15, v14
	s_waitcnt lgkmcnt(0)
	v_add_u32_e32 v14, v33, v14
	ds_write_b32 v34, v14 offset:32
.LBB24_107:
	s_or_b64 exec, exec, s[0:1]
	v_lshrrev_b64 v[14:15], s48, v[1:2]
	v_and_b32_e32 v15, s14, v14
	v_mul_lo_u32 v14, v15, 36
	v_and_b32_e32 v38, 1, v15
	; wave barrier
	v_add_u32_e32 v37, v16, v14
	v_add_co_u32_e32 v14, vcc, -1, v38
	v_addc_co_u32_e64 v16, s[0:1], 0, -1, vcc
	v_cmp_ne_u32_e32 vcc, 0, v38
	v_xor_b32_e32 v14, vcc_lo, v14
	v_and_b32_e32 v38, exec_lo, v14
	v_lshlrev_b32_e32 v14, 30, v15
	v_xor_b32_e32 v16, vcc_hi, v16
	v_cmp_gt_i64_e32 vcc, 0, v[13:14]
	v_not_b32_e32 v14, v14
	v_ashrrev_i32_e32 v14, 31, v14
	v_xor_b32_e32 v39, vcc_hi, v14
	v_xor_b32_e32 v14, vcc_lo, v14
	v_and_b32_e32 v38, v38, v14
	v_lshlrev_b32_e32 v14, 29, v15
	v_cmp_gt_i64_e32 vcc, 0, v[13:14]
	v_not_b32_e32 v14, v14
	v_and_b32_e32 v16, exec_hi, v16
	v_ashrrev_i32_e32 v14, 31, v14
	v_and_b32_e32 v16, v16, v39
	v_xor_b32_e32 v39, vcc_hi, v14
	v_xor_b32_e32 v14, vcc_lo, v14
	v_and_b32_e32 v38, v38, v14
	v_lshlrev_b32_e32 v14, 28, v15
	v_cmp_gt_i64_e32 vcc, 0, v[13:14]
	v_not_b32_e32 v14, v14
	v_ashrrev_i32_e32 v14, 31, v14
	v_and_b32_e32 v16, v16, v39
	v_xor_b32_e32 v39, vcc_hi, v14
	v_xor_b32_e32 v14, vcc_lo, v14
	v_and_b32_e32 v38, v38, v14
	v_lshlrev_b32_e32 v14, 27, v15
	v_cmp_gt_i64_e32 vcc, 0, v[13:14]
	v_not_b32_e32 v14, v14
	;; [unrolled: 8-line block ×5, first 2 shown]
	v_ashrrev_i32_e32 v13, 31, v13
	v_xor_b32_e32 v14, vcc_hi, v13
	v_xor_b32_e32 v13, vcc_lo, v13
	ds_read_b32 v36, v37 offset:32
	v_and_b32_e32 v16, v16, v39
	v_and_b32_e32 v13, v38, v13
	;; [unrolled: 1-line block ×3, first 2 shown]
	v_mbcnt_lo_u32_b32 v15, v13, 0
	v_mbcnt_hi_u32_b32 v38, v14, v15
	v_cmp_ne_u64_e32 vcc, 0, v[13:14]
	v_cmp_eq_u32_e64 s[0:1], 0, v38
	s_and_b64 s[2:3], vcc, s[0:1]
	; wave barrier
	s_and_saveexec_b64 s[0:1], s[2:3]
	s_cbranch_execz .LBB24_109
; %bb.108:
	v_bcnt_u32_b32 v13, v13, 0
	v_bcnt_u32_b32 v13, v14, v13
	s_waitcnt lgkmcnt(0)
	v_add_u32_e32 v13, v36, v13
	ds_write_b32 v37, v13 offset:32
.LBB24_109:
	s_or_b64 exec, exec, s[0:1]
	; wave barrier
	s_waitcnt lgkmcnt(0)
	s_barrier
	ds_read2_b32 v[15:16], v20 offset0:8 offset1:9
	ds_read2_b32 v[13:14], v20 offset0:10 offset1:11
	ds_read_b32 v39, v20 offset:48
	v_min_u32_e32 v21, 0x1c0, v21
	v_or_b32_e32 v21, 63, v21
	s_waitcnt lgkmcnt(1)
	v_add3_u32 v40, v16, v15, v13
	s_waitcnt lgkmcnt(0)
	v_add3_u32 v39, v40, v14, v39
	v_and_b32_e32 v40, 15, v19
	v_cmp_ne_u32_e32 vcc, 0, v40
	v_mov_b32_dpp v41, v39 row_shr:1 row_mask:0xf bank_mask:0xf
	v_cndmask_b32_e32 v41, 0, v41, vcc
	v_add_u32_e32 v39, v41, v39
	v_cmp_lt_u32_e32 vcc, 1, v40
	s_nop 0
	v_mov_b32_dpp v41, v39 row_shr:2 row_mask:0xf bank_mask:0xf
	v_cndmask_b32_e32 v41, 0, v41, vcc
	v_add_u32_e32 v39, v39, v41
	v_cmp_lt_u32_e32 vcc, 3, v40
	s_nop 0
	;; [unrolled: 5-line block ×3, first 2 shown]
	v_mov_b32_dpp v41, v39 row_shr:8 row_mask:0xf bank_mask:0xf
	v_cndmask_b32_e32 v40, 0, v41, vcc
	v_add_u32_e32 v39, v39, v40
	v_bfe_i32 v41, v19, 4, 1
	v_cmp_lt_u32_e32 vcc, 31, v19
	v_mov_b32_dpp v40, v39 row_bcast:15 row_mask:0xf bank_mask:0xf
	v_and_b32_e32 v40, v41, v40
	v_add_u32_e32 v39, v39, v40
	s_nop 1
	v_mov_b32_dpp v40, v39 row_bcast:31 row_mask:0xf bank_mask:0xf
	v_cndmask_b32_e32 v40, 0, v40, vcc
	v_add_u32_e32 v39, v39, v40
	v_lshrrev_b32_e32 v40, 6, v0
	v_cmp_eq_u32_e32 vcc, v0, v21
	s_and_saveexec_b64 s[0:1], vcc
; %bb.110:
	v_lshlrev_b32_e32 v21, 2, v40
	ds_write_b32 v21, v39
; %bb.111:
	s_or_b64 exec, exec, s[0:1]
	v_cmp_gt_u32_e32 vcc, 8, v0
	s_waitcnt lgkmcnt(0)
	s_barrier
	s_and_saveexec_b64 s[0:1], vcc
	s_cbranch_execz .LBB24_113
; %bb.112:
	v_lshlrev_b32_e32 v21, 2, v0
	ds_read_b32 v41, v21
	v_and_b32_e32 v42, 7, v19
	v_cmp_ne_u32_e32 vcc, 0, v42
	s_waitcnt lgkmcnt(0)
	v_mov_b32_dpp v43, v41 row_shr:1 row_mask:0xf bank_mask:0xf
	v_cndmask_b32_e32 v43, 0, v43, vcc
	v_add_u32_e32 v41, v43, v41
	v_cmp_lt_u32_e32 vcc, 1, v42
	s_nop 0
	v_mov_b32_dpp v43, v41 row_shr:2 row_mask:0xf bank_mask:0xf
	v_cndmask_b32_e32 v43, 0, v43, vcc
	v_add_u32_e32 v41, v41, v43
	v_cmp_lt_u32_e32 vcc, 3, v42
	s_nop 0
	v_mov_b32_dpp v43, v41 row_shr:4 row_mask:0xf bank_mask:0xf
	v_cndmask_b32_e32 v42, 0, v43, vcc
	v_add_u32_e32 v41, v41, v42
	ds_write_b32 v21, v41
.LBB24_113:
	s_or_b64 exec, exec, s[0:1]
	v_cmp_lt_u32_e32 vcc, 63, v0
	v_mov_b32_e32 v21, 0
	s_waitcnt lgkmcnt(0)
	s_barrier
	s_and_saveexec_b64 s[0:1], vcc
; %bb.114:
	v_lshl_add_u32 v21, v40, 2, -4
	ds_read_b32 v21, v21
; %bb.115:
	s_or_b64 exec, exec, s[0:1]
	v_add_u32_e32 v40, -1, v19
	v_and_b32_e32 v41, 64, v19
	v_cmp_lt_i32_e32 vcc, v40, v41
	v_cndmask_b32_e32 v40, v40, v19, vcc
	s_waitcnt lgkmcnt(0)
	v_add_u32_e32 v39, v21, v39
	v_lshlrev_b32_e32 v40, 2, v40
	ds_bpermute_b32 v39, v40, v39
	v_cmp_eq_u32_e32 vcc, 0, v19
	s_movk_i32 s0, 0xff
	s_movk_i32 s2, 0x100
	s_waitcnt lgkmcnt(0)
	v_cndmask_b32_e32 v19, v39, v21, vcc
	v_cmp_ne_u32_e32 vcc, 0, v0
	v_cndmask_b32_e32 v19, 0, v19, vcc
	v_add_u32_e32 v15, v19, v15
	v_add_u32_e32 v16, v15, v16
	;; [unrolled: 1-line block ×4, first 2 shown]
	ds_write2_b32 v20, v19, v15 offset0:8 offset1:9
	ds_write2_b32 v20, v16, v13 offset0:10 offset1:11
	ds_write_b32 v20, v14 offset:48
	s_waitcnt lgkmcnt(0)
	s_barrier
	ds_read_b32 v16, v24 offset:32
	ds_read_b32 v19, v25 offset:32
	;; [unrolled: 1-line block ×6, first 2 shown]
	v_mov_b32_e32 v13, 0
	v_cmp_lt_u32_e32 vcc, s0, v0
	v_mov_b32_e32 v14, 0
	v_cmp_gt_u32_e64 s[0:1], s2, v0
                                        ; implicit-def: $vgpr15
	s_and_saveexec_b64 s[4:5], s[0:1]
	s_cbranch_execz .LBB24_119
; %bb.116:
	v_mul_u32_u24_e32 v13, 36, v0
	ds_read_b32 v13, v13 offset:32
	v_add_u32_e32 v15, 1, v0
	v_cmp_ne_u32_e64 s[2:3], s2, v15
	v_mov_b32_e32 v14, 0xc00
	s_and_saveexec_b64 s[10:11], s[2:3]
; %bb.117:
	v_mul_u32_u24_e32 v14, 36, v15
	ds_read_b32 v14, v14 offset:32
; %bb.118:
	s_or_b64 exec, exec, s[10:11]
	s_waitcnt lgkmcnt(0)
	v_sub_u32_e32 v15, v14, v13
	v_mov_b32_e32 v14, 0
.LBB24_119:
	s_or_b64 exec, exec, s[4:5]
	v_lshlrev_b32_e32 v22, 3, v22
	s_waitcnt lgkmcnt(5)
	v_lshl_add_u32 v16, v16, 3, v22
	s_waitcnt lgkmcnt(0)
	s_barrier
	ds_write_b64 v16, v[3:4] offset:2048
	v_lshlrev_b32_e32 v3, 3, v26
	v_lshlrev_b32_e32 v4, 3, v23
	v_lshlrev_b32_e32 v19, 3, v19
	v_add3_u32 v19, v3, v4, v19
	ds_write_b64 v19, v[11:12] offset:2048
	v_lshlrev_b32_e32 v3, 3, v29
	v_lshlrev_b32_e32 v4, 3, v27
	v_lshlrev_b32_e32 v11, 3, v25
	v_add3_u32 v11, v3, v4, v11
	;; [unrolled: 5-line block ×5, first 2 shown]
	ds_write_b64 v10, v[1:2] offset:2048
	v_mov_b32_e32 v2, 0
	v_lshlrev_b32_e32 v7, 3, v0
	s_waitcnt lgkmcnt(0)
	s_barrier
	s_and_saveexec_b64 s[2:3], s[0:1]
	s_cbranch_execz .LBB24_129
; %bb.120:
	v_lshl_add_u32 v1, s6, 8, v0
	v_lshlrev_b64 v[3:4], 2, v[1:2]
	v_mov_b32_e32 v12, s31
	v_add_co_u32_e64 v3, s[0:1], s30, v3
	v_addc_co_u32_e64 v4, s[0:1], v12, v4, s[0:1]
	v_or_b32_e32 v1, 2.0, v15
	s_mov_b64 s[4:5], 0
	s_brev_b32 s15, -4
	s_mov_b32 s16, s6
	v_mov_b32_e32 v20, 0
	global_store_dword v[3:4], v1, off
                                        ; implicit-def: $sgpr0_sgpr1
	s_branch .LBB24_123
.LBB24_121:                             ;   in Loop: Header=BB24_123 Depth=1
	s_or_b64 exec, exec, s[12:13]
.LBB24_122:                             ;   in Loop: Header=BB24_123 Depth=1
	s_or_b64 exec, exec, s[10:11]
	v_and_b32_e32 v5, 0x3fffffff, v1
	v_add_u32_e32 v20, v5, v20
	v_cmp_gt_i32_e64 s[0:1], -2.0, v1
	s_and_b64 s[10:11], exec, s[0:1]
	s_or_b64 s[4:5], s[10:11], s[4:5]
	s_andn2_b64 exec, exec, s[4:5]
	s_cbranch_execz .LBB24_128
.LBB24_123:                             ; =>This Loop Header: Depth=1
                                        ;     Child Loop BB24_126 Depth 2
	s_or_b64 s[0:1], s[0:1], exec
	s_cmp_eq_u32 s16, 0
	s_cbranch_scc1 .LBB24_127
; %bb.124:                              ;   in Loop: Header=BB24_123 Depth=1
	s_add_i32 s16, s16, -1
	v_lshl_or_b32 v1, s16, 8, v0
	v_lshlrev_b64 v[5:6], 2, v[1:2]
	v_add_co_u32_e64 v5, s[0:1], s30, v5
	v_addc_co_u32_e64 v6, s[0:1], v12, v6, s[0:1]
	global_load_dword v1, v[5:6], off glc
	s_waitcnt vmcnt(0)
	v_cmp_gt_u32_e64 s[0:1], 2.0, v1
	s_and_saveexec_b64 s[10:11], s[0:1]
	s_cbranch_execz .LBB24_122
; %bb.125:                              ;   in Loop: Header=BB24_123 Depth=1
	s_mov_b64 s[12:13], 0
.LBB24_126:                             ;   Parent Loop BB24_123 Depth=1
                                        ; =>  This Inner Loop Header: Depth=2
	global_load_dword v1, v[5:6], off glc
	s_waitcnt vmcnt(0)
	v_cmp_lt_u32_e64 s[0:1], s15, v1
	s_or_b64 s[12:13], s[0:1], s[12:13]
	s_andn2_b64 exec, exec, s[12:13]
	s_cbranch_execnz .LBB24_126
	s_branch .LBB24_121
.LBB24_127:                             ;   in Loop: Header=BB24_123 Depth=1
                                        ; implicit-def: $sgpr16
	s_and_b64 s[10:11], exec, s[0:1]
	s_or_b64 s[4:5], s[10:11], s[4:5]
	s_andn2_b64 exec, exec, s[4:5]
	s_cbranch_execnz .LBB24_123
.LBB24_128:
	s_or_b64 exec, exec, s[4:5]
	v_add_u32_e32 v0, v20, v15
	v_or_b32_e32 v0, 0x80000000, v0
	global_store_dword v[3:4], v0, off
	global_load_dwordx2 v[0:1], v7, s[44:45]
	v_sub_co_u32_e64 v2, s[0:1], v20, v13
	v_subb_co_u32_e64 v3, s[0:1], 0, v14, s[0:1]
	s_waitcnt vmcnt(0)
	v_add_co_u32_e64 v0, s[0:1], v2, v0
	v_addc_co_u32_e64 v1, s[0:1], v3, v1, s[0:1]
	ds_write_b64 v7, v[0:1]
.LBB24_129:
	s_or_b64 exec, exec, s[2:3]
	s_waitcnt lgkmcnt(0)
	s_barrier
	ds_read2st64_b64 v[0:3], v7 offset0:4 offset1:12
	ds_read2st64_b64 v[20:23], v7 offset0:20 offset1:28
	v_or_b32_e32 v33, 0x1000, v7
	v_or_b32_e32 v34, 0x5000, v7
	s_waitcnt lgkmcnt(1)
	v_lshrrev_b64 v[4:5], s48, v[0:1]
	v_lshrrev_b64 v[5:6], s48, v[2:3]
	v_and_b32_e32 v4, s14, v4
	v_lshlrev_b32_e32 v12, 3, v4
	ds_read_b64 v[24:25], v12
	v_and_b32_e32 v6, s14, v5
	s_waitcnt lgkmcnt(1)
	v_lshrrev_b64 v[4:5], s48, v[20:21]
	v_lshlrev_b32_e32 v30, 3, v6
	v_and_b32_e32 v6, s14, v4
	v_lshrrev_b64 v[4:5], s48, v[22:23]
	s_waitcnt lgkmcnt(0)
	v_lshlrev_b64 v[24:25], 3, v[24:25]
	v_lshlrev_b32_e32 v31, 3, v6
	v_and_b32_e32 v4, s14, v4
	v_mov_b32_e32 v6, s39
	v_add_co_u32_e64 v24, s[0:1], s38, v24
	v_lshlrev_b32_e32 v32, 3, v4
	ds_read_b64 v[4:5], v30
	ds_read_b64 v[26:27], v31
	;; [unrolled: 1-line block ×3, first 2 shown]
	v_addc_co_u32_e64 v6, s[0:1], v6, v25, s[0:1]
	v_add_co_u32_e64 v24, s[0:1], v24, v7
	v_addc_co_u32_e64 v25, s[0:1], 0, v6, s[0:1]
	global_store_dwordx2 v[24:25], v[0:1], off
	s_waitcnt lgkmcnt(2)
	v_lshlrev_b64 v[0:1], 3, v[4:5]
	v_mov_b32_e32 v4, s39
	v_add_co_u32_e64 v0, s[0:1], s38, v0
	v_addc_co_u32_e64 v1, s[0:1], v4, v1, s[0:1]
	v_add_co_u32_e64 v0, s[0:1], v0, v33
	v_addc_co_u32_e64 v1, s[0:1], 0, v1, s[0:1]
	global_store_dwordx2 v[0:1], v[2:3], off
	s_waitcnt lgkmcnt(1)
	v_lshlrev_b64 v[0:1], 3, v[26:27]
	v_mov_b32_e32 v2, s39
	v_add_co_u32_e64 v0, s[0:1], s38, v0
	v_addc_co_u32_e64 v1, s[0:1], v2, v1, s[0:1]
	v_or_b32_e32 v26, 0x2000, v7
	v_add_co_u32_e64 v0, s[0:1], v0, v26
	v_addc_co_u32_e64 v1, s[0:1], 0, v1, s[0:1]
	global_store_dwordx2 v[0:1], v[20:21], off
	ds_read2st64_b64 v[0:3], v7 offset0:36 offset1:44
	s_waitcnt lgkmcnt(1)
	v_lshlrev_b64 v[4:5], 3, v[28:29]
	v_mov_b32_e32 v6, s39
	v_add_co_u32_e64 v20, s[0:1], s38, v4
	v_addc_co_u32_e64 v6, s[0:1], v6, v5, s[0:1]
	s_waitcnt lgkmcnt(0)
	v_lshrrev_b64 v[4:5], s48, v[0:1]
	v_or_b32_e32 v27, 0x3000, v7
	v_and_b32_e32 v4, s14, v4
	v_lshlrev_b32_e32 v28, 3, v4
	v_add_co_u32_e64 v5, s[0:1], v20, v27
	ds_read_b64 v[20:21], v28
	v_lshrrev_b64 v[24:25], s48, v[2:3]
	v_addc_co_u32_e64 v6, s[0:1], 0, v6, s[0:1]
	v_and_b32_e32 v4, s14, v24
	global_store_dwordx2 v[5:6], v[22:23], off
	v_lshlrev_b32_e32 v6, 3, v4
	ds_read_b64 v[4:5], v6
	s_waitcnt lgkmcnt(1)
	v_lshlrev_b64 v[20:21], 3, v[20:21]
	v_mov_b32_e32 v22, s39
	v_add_co_u32_e64 v20, s[0:1], s38, v20
	v_addc_co_u32_e64 v21, s[0:1], v22, v21, s[0:1]
	v_or_b32_e32 v29, 0x4000, v7
	v_add_co_u32_e64 v20, s[0:1], v20, v29
	v_addc_co_u32_e64 v21, s[0:1], 0, v21, s[0:1]
	global_store_dwordx2 v[20:21], v[0:1], off
	s_waitcnt lgkmcnt(0)
	v_lshlrev_b64 v[0:1], 3, v[4:5]
	v_mov_b32_e32 v4, s39
	v_add_co_u32_e64 v0, s[0:1], s38, v0
	v_addc_co_u32_e64 v1, s[0:1], v4, v1, s[0:1]
	v_add_co_u32_e64 v0, s[0:1], v0, v34
	v_addc_co_u32_e64 v1, s[0:1], 0, v1, s[0:1]
	s_add_u32 s0, s40, s8
	s_addc_u32 s1, s41, s9
	global_store_dwordx2 v[0:1], v[2:3], off
	v_mov_b32_e32 v0, s1
	v_add_co_u32_e64 v1, s[0:1], s0, v17
	v_addc_co_u32_e64 v2, s[0:1], 0, v0, s[0:1]
	v_add_co_u32_e64 v0, s[0:1], v1, v18
	v_addc_co_u32_e64 v1, s[0:1], 0, v2, s[0:1]
	global_load_dwordx2 v[2:3], v[0:1], off
	global_load_dwordx2 v[4:5], v[0:1], off offset:512
	global_load_dwordx2 v[17:18], v[0:1], off offset:1024
	;; [unrolled: 1-line block ×5, first 2 shown]
	s_waitcnt vmcnt(0)
	s_barrier
	s_add_i32 s7, s7, -1
	s_cmp_eq_u32 s6, s7
	ds_write_b64 v16, v[2:3] offset:2048
	ds_write_b64 v19, v[4:5] offset:2048
	;; [unrolled: 1-line block ×6, first 2 shown]
	s_waitcnt lgkmcnt(0)
	s_barrier
	ds_read_b64 v[4:5], v12
	ds_read2st64_b64 v[0:3], v7 offset0:4 offset1:12
	ds_read_b64 v[8:9], v30
	ds_read_b64 v[10:11], v31
	;; [unrolled: 1-line block ×3, first 2 shown]
	s_waitcnt lgkmcnt(4)
	v_lshlrev_b64 v[4:5], 3, v[4:5]
	v_mov_b32_e32 v12, s43
	v_add_co_u32_e64 v4, s[0:1], s42, v4
	v_addc_co_u32_e64 v5, s[0:1], v12, v5, s[0:1]
	v_add_co_u32_e64 v4, s[0:1], v4, v7
	v_addc_co_u32_e64 v5, s[0:1], 0, v5, s[0:1]
	s_waitcnt lgkmcnt(3)
	global_store_dwordx2 v[4:5], v[0:1], off
	s_waitcnt lgkmcnt(2)
	v_lshlrev_b64 v[0:1], 3, v[8:9]
	v_mov_b32_e32 v4, s43
	v_add_co_u32_e64 v0, s[0:1], s42, v0
	v_addc_co_u32_e64 v1, s[0:1], v4, v1, s[0:1]
	v_add_co_u32_e64 v0, s[0:1], v0, v33
	v_addc_co_u32_e64 v1, s[0:1], 0, v1, s[0:1]
	s_waitcnt lgkmcnt(1)
	v_lshlrev_b64 v[4:5], 3, v[10:11]
	global_store_dwordx2 v[0:1], v[2:3], off
	ds_read2st64_b64 v[0:3], v7 offset0:20 offset1:28
	v_mov_b32_e32 v8, s43
	v_add_co_u32_e64 v4, s[0:1], s42, v4
	v_addc_co_u32_e64 v5, s[0:1], v8, v5, s[0:1]
	v_add_co_u32_e64 v4, s[0:1], v4, v26
	v_addc_co_u32_e64 v5, s[0:1], 0, v5, s[0:1]
	s_waitcnt lgkmcnt(0)
	global_store_dwordx2 v[4:5], v[0:1], off
	v_lshlrev_b64 v[0:1], 3, v[16:17]
	v_mov_b32_e32 v4, s43
	v_add_co_u32_e64 v0, s[0:1], s42, v0
	v_addc_co_u32_e64 v1, s[0:1], v4, v1, s[0:1]
	ds_read_b64 v[4:5], v28
	v_add_co_u32_e64 v0, s[0:1], v0, v27
	v_addc_co_u32_e64 v1, s[0:1], 0, v1, s[0:1]
	global_store_dwordx2 v[0:1], v[2:3], off
	s_waitcnt lgkmcnt(0)
	v_lshlrev_b64 v[4:5], 3, v[4:5]
	ds_read2st64_b64 v[0:3], v7 offset0:36 offset1:44
	ds_read_b64 v[8:9], v6
	v_mov_b32_e32 v6, s43
	v_add_co_u32_e64 v4, s[0:1], s42, v4
	v_addc_co_u32_e64 v5, s[0:1], v6, v5, s[0:1]
	v_add_co_u32_e64 v4, s[0:1], v4, v29
	v_addc_co_u32_e64 v5, s[0:1], 0, v5, s[0:1]
	s_waitcnt lgkmcnt(1)
	global_store_dwordx2 v[4:5], v[0:1], off
	s_waitcnt lgkmcnt(0)
	v_lshlrev_b64 v[0:1], 3, v[8:9]
	v_mov_b32_e32 v4, s43
	v_add_co_u32_e64 v0, s[0:1], s42, v0
	v_addc_co_u32_e64 v1, s[0:1], v4, v1, s[0:1]
	v_add_co_u32_e64 v0, s[0:1], v0, v34
	v_addc_co_u32_e64 v1, s[0:1], 0, v1, s[0:1]
	s_cselect_b64 s[0:1], -1, 0
	s_xor_b64 s[2:3], vcc, -1
	s_and_b64 s[0:1], s[2:3], s[0:1]
	global_store_dwordx2 v[0:1], v[2:3], off
	s_and_saveexec_b64 s[2:3], s[0:1]
	s_cbranch_execz .LBB24_131
; %bb.130:
	ds_read_b64 v[0:1], v7
	v_add_co_u32_e32 v2, vcc, v13, v15
	v_addc_co_u32_e32 v3, vcc, 0, v14, vcc
	s_waitcnt lgkmcnt(0)
	v_add_co_u32_e32 v0, vcc, v2, v0
	v_addc_co_u32_e32 v1, vcc, v3, v1, vcc
	global_store_dwordx2 v7, v[0:1], s[46:47]
.LBB24_131:
	s_endpgm
	.section	.rodata,"a",@progbits
	.p2align	6, 0x0
	.amdhsa_kernel _ZN7rocprim17ROCPRIM_304000_NS6detail25onesweep_iteration_kernelINS1_34wrapped_radix_sort_onesweep_configINS0_14default_configEmN2at4cuda3cub6detail10OpaqueTypeILi8EEEEELb0EPKmPmPKSA_PSA_mNS0_19identity_decomposerEEEvT1_T2_T3_T4_jPT5_SO_PNS1_23onesweep_lookback_stateET6_jjj
		.amdhsa_group_segment_fixed_size 26624
		.amdhsa_private_segment_fixed_size 0
		.amdhsa_kernarg_size 336
		.amdhsa_user_sgpr_count 6
		.amdhsa_user_sgpr_private_segment_buffer 1
		.amdhsa_user_sgpr_dispatch_ptr 0
		.amdhsa_user_sgpr_queue_ptr 0
		.amdhsa_user_sgpr_kernarg_segment_ptr 1
		.amdhsa_user_sgpr_dispatch_id 0
		.amdhsa_user_sgpr_flat_scratch_init 0
		.amdhsa_user_sgpr_private_segment_size 0
		.amdhsa_uses_dynamic_stack 0
		.amdhsa_system_sgpr_private_segment_wavefront_offset 0
		.amdhsa_system_sgpr_workgroup_id_x 1
		.amdhsa_system_sgpr_workgroup_id_y 0
		.amdhsa_system_sgpr_workgroup_id_z 0
		.amdhsa_system_sgpr_workgroup_info 0
		.amdhsa_system_vgpr_workitem_id 2
		.amdhsa_next_free_vgpr 49
		.amdhsa_next_free_sgpr 98
		.amdhsa_reserve_vcc 1
		.amdhsa_reserve_flat_scratch 0
		.amdhsa_float_round_mode_32 0
		.amdhsa_float_round_mode_16_64 0
		.amdhsa_float_denorm_mode_32 3
		.amdhsa_float_denorm_mode_16_64 3
		.amdhsa_dx10_clamp 1
		.amdhsa_ieee_mode 1
		.amdhsa_fp16_overflow 0
		.amdhsa_exception_fp_ieee_invalid_op 0
		.amdhsa_exception_fp_denorm_src 0
		.amdhsa_exception_fp_ieee_div_zero 0
		.amdhsa_exception_fp_ieee_overflow 0
		.amdhsa_exception_fp_ieee_underflow 0
		.amdhsa_exception_fp_ieee_inexact 0
		.amdhsa_exception_int_div_zero 0
	.end_amdhsa_kernel
	.section	.text._ZN7rocprim17ROCPRIM_304000_NS6detail25onesweep_iteration_kernelINS1_34wrapped_radix_sort_onesweep_configINS0_14default_configEmN2at4cuda3cub6detail10OpaqueTypeILi8EEEEELb0EPKmPmPKSA_PSA_mNS0_19identity_decomposerEEEvT1_T2_T3_T4_jPT5_SO_PNS1_23onesweep_lookback_stateET6_jjj,"axG",@progbits,_ZN7rocprim17ROCPRIM_304000_NS6detail25onesweep_iteration_kernelINS1_34wrapped_radix_sort_onesweep_configINS0_14default_configEmN2at4cuda3cub6detail10OpaqueTypeILi8EEEEELb0EPKmPmPKSA_PSA_mNS0_19identity_decomposerEEEvT1_T2_T3_T4_jPT5_SO_PNS1_23onesweep_lookback_stateET6_jjj,comdat
.Lfunc_end24:
	.size	_ZN7rocprim17ROCPRIM_304000_NS6detail25onesweep_iteration_kernelINS1_34wrapped_radix_sort_onesweep_configINS0_14default_configEmN2at4cuda3cub6detail10OpaqueTypeILi8EEEEELb0EPKmPmPKSA_PSA_mNS0_19identity_decomposerEEEvT1_T2_T3_T4_jPT5_SO_PNS1_23onesweep_lookback_stateET6_jjj, .Lfunc_end24-_ZN7rocprim17ROCPRIM_304000_NS6detail25onesweep_iteration_kernelINS1_34wrapped_radix_sort_onesweep_configINS0_14default_configEmN2at4cuda3cub6detail10OpaqueTypeILi8EEEEELb0EPKmPmPKSA_PSA_mNS0_19identity_decomposerEEEvT1_T2_T3_T4_jPT5_SO_PNS1_23onesweep_lookback_stateET6_jjj
                                        ; -- End function
	.set _ZN7rocprim17ROCPRIM_304000_NS6detail25onesweep_iteration_kernelINS1_34wrapped_radix_sort_onesweep_configINS0_14default_configEmN2at4cuda3cub6detail10OpaqueTypeILi8EEEEELb0EPKmPmPKSA_PSA_mNS0_19identity_decomposerEEEvT1_T2_T3_T4_jPT5_SO_PNS1_23onesweep_lookback_stateET6_jjj.num_vgpr, 47
	.set _ZN7rocprim17ROCPRIM_304000_NS6detail25onesweep_iteration_kernelINS1_34wrapped_radix_sort_onesweep_configINS0_14default_configEmN2at4cuda3cub6detail10OpaqueTypeILi8EEEEELb0EPKmPmPKSA_PSA_mNS0_19identity_decomposerEEEvT1_T2_T3_T4_jPT5_SO_PNS1_23onesweep_lookback_stateET6_jjj.num_agpr, 0
	.set _ZN7rocprim17ROCPRIM_304000_NS6detail25onesweep_iteration_kernelINS1_34wrapped_radix_sort_onesweep_configINS0_14default_configEmN2at4cuda3cub6detail10OpaqueTypeILi8EEEEELb0EPKmPmPKSA_PSA_mNS0_19identity_decomposerEEEvT1_T2_T3_T4_jPT5_SO_PNS1_23onesweep_lookback_stateET6_jjj.numbered_sgpr, 54
	.set _ZN7rocprim17ROCPRIM_304000_NS6detail25onesweep_iteration_kernelINS1_34wrapped_radix_sort_onesweep_configINS0_14default_configEmN2at4cuda3cub6detail10OpaqueTypeILi8EEEEELb0EPKmPmPKSA_PSA_mNS0_19identity_decomposerEEEvT1_T2_T3_T4_jPT5_SO_PNS1_23onesweep_lookback_stateET6_jjj.num_named_barrier, 0
	.set _ZN7rocprim17ROCPRIM_304000_NS6detail25onesweep_iteration_kernelINS1_34wrapped_radix_sort_onesweep_configINS0_14default_configEmN2at4cuda3cub6detail10OpaqueTypeILi8EEEEELb0EPKmPmPKSA_PSA_mNS0_19identity_decomposerEEEvT1_T2_T3_T4_jPT5_SO_PNS1_23onesweep_lookback_stateET6_jjj.private_seg_size, 0
	.set _ZN7rocprim17ROCPRIM_304000_NS6detail25onesweep_iteration_kernelINS1_34wrapped_radix_sort_onesweep_configINS0_14default_configEmN2at4cuda3cub6detail10OpaqueTypeILi8EEEEELb0EPKmPmPKSA_PSA_mNS0_19identity_decomposerEEEvT1_T2_T3_T4_jPT5_SO_PNS1_23onesweep_lookback_stateET6_jjj.uses_vcc, 1
	.set _ZN7rocprim17ROCPRIM_304000_NS6detail25onesweep_iteration_kernelINS1_34wrapped_radix_sort_onesweep_configINS0_14default_configEmN2at4cuda3cub6detail10OpaqueTypeILi8EEEEELb0EPKmPmPKSA_PSA_mNS0_19identity_decomposerEEEvT1_T2_T3_T4_jPT5_SO_PNS1_23onesweep_lookback_stateET6_jjj.uses_flat_scratch, 0
	.set _ZN7rocprim17ROCPRIM_304000_NS6detail25onesweep_iteration_kernelINS1_34wrapped_radix_sort_onesweep_configINS0_14default_configEmN2at4cuda3cub6detail10OpaqueTypeILi8EEEEELb0EPKmPmPKSA_PSA_mNS0_19identity_decomposerEEEvT1_T2_T3_T4_jPT5_SO_PNS1_23onesweep_lookback_stateET6_jjj.has_dyn_sized_stack, 0
	.set _ZN7rocprim17ROCPRIM_304000_NS6detail25onesweep_iteration_kernelINS1_34wrapped_radix_sort_onesweep_configINS0_14default_configEmN2at4cuda3cub6detail10OpaqueTypeILi8EEEEELb0EPKmPmPKSA_PSA_mNS0_19identity_decomposerEEEvT1_T2_T3_T4_jPT5_SO_PNS1_23onesweep_lookback_stateET6_jjj.has_recursion, 0
	.set _ZN7rocprim17ROCPRIM_304000_NS6detail25onesweep_iteration_kernelINS1_34wrapped_radix_sort_onesweep_configINS0_14default_configEmN2at4cuda3cub6detail10OpaqueTypeILi8EEEEELb0EPKmPmPKSA_PSA_mNS0_19identity_decomposerEEEvT1_T2_T3_T4_jPT5_SO_PNS1_23onesweep_lookback_stateET6_jjj.has_indirect_call, 0
	.section	.AMDGPU.csdata,"",@progbits
; Kernel info:
; codeLenInByte = 10972
; TotalNumSgprs: 58
; NumVgprs: 47
; ScratchSize: 0
; MemoryBound: 0
; FloatMode: 240
; IeeeMode: 1
; LDSByteSize: 26624 bytes/workgroup (compile time only)
; SGPRBlocks: 12
; VGPRBlocks: 12
; NumSGPRsForWavesPerEU: 102
; NumVGPRsForWavesPerEU: 49
; Occupancy: 4
; WaveLimiterHint : 1
; COMPUTE_PGM_RSRC2:SCRATCH_EN: 0
; COMPUTE_PGM_RSRC2:USER_SGPR: 6
; COMPUTE_PGM_RSRC2:TRAP_HANDLER: 0
; COMPUTE_PGM_RSRC2:TGID_X_EN: 1
; COMPUTE_PGM_RSRC2:TGID_Y_EN: 0
; COMPUTE_PGM_RSRC2:TGID_Z_EN: 0
; COMPUTE_PGM_RSRC2:TIDIG_COMP_CNT: 2
	.section	.text._ZN7rocprim17ROCPRIM_304000_NS6detail25onesweep_iteration_kernelINS1_34wrapped_radix_sort_onesweep_configINS0_14default_configEmN2at4cuda3cub6detail10OpaqueTypeILi8EEEEELb0EPmSC_PSA_SD_mNS0_19identity_decomposerEEEvT1_T2_T3_T4_jPT5_SK_PNS1_23onesweep_lookback_stateET6_jjj,"axG",@progbits,_ZN7rocprim17ROCPRIM_304000_NS6detail25onesweep_iteration_kernelINS1_34wrapped_radix_sort_onesweep_configINS0_14default_configEmN2at4cuda3cub6detail10OpaqueTypeILi8EEEEELb0EPmSC_PSA_SD_mNS0_19identity_decomposerEEEvT1_T2_T3_T4_jPT5_SK_PNS1_23onesweep_lookback_stateET6_jjj,comdat
	.protected	_ZN7rocprim17ROCPRIM_304000_NS6detail25onesweep_iteration_kernelINS1_34wrapped_radix_sort_onesweep_configINS0_14default_configEmN2at4cuda3cub6detail10OpaqueTypeILi8EEEEELb0EPmSC_PSA_SD_mNS0_19identity_decomposerEEEvT1_T2_T3_T4_jPT5_SK_PNS1_23onesweep_lookback_stateET6_jjj ; -- Begin function _ZN7rocprim17ROCPRIM_304000_NS6detail25onesweep_iteration_kernelINS1_34wrapped_radix_sort_onesweep_configINS0_14default_configEmN2at4cuda3cub6detail10OpaqueTypeILi8EEEEELb0EPmSC_PSA_SD_mNS0_19identity_decomposerEEEvT1_T2_T3_T4_jPT5_SK_PNS1_23onesweep_lookback_stateET6_jjj
	.globl	_ZN7rocprim17ROCPRIM_304000_NS6detail25onesweep_iteration_kernelINS1_34wrapped_radix_sort_onesweep_configINS0_14default_configEmN2at4cuda3cub6detail10OpaqueTypeILi8EEEEELb0EPmSC_PSA_SD_mNS0_19identity_decomposerEEEvT1_T2_T3_T4_jPT5_SK_PNS1_23onesweep_lookback_stateET6_jjj
	.p2align	8
	.type	_ZN7rocprim17ROCPRIM_304000_NS6detail25onesweep_iteration_kernelINS1_34wrapped_radix_sort_onesweep_configINS0_14default_configEmN2at4cuda3cub6detail10OpaqueTypeILi8EEEEELb0EPmSC_PSA_SD_mNS0_19identity_decomposerEEEvT1_T2_T3_T4_jPT5_SK_PNS1_23onesweep_lookback_stateET6_jjj,@function
_ZN7rocprim17ROCPRIM_304000_NS6detail25onesweep_iteration_kernelINS1_34wrapped_radix_sort_onesweep_configINS0_14default_configEmN2at4cuda3cub6detail10OpaqueTypeILi8EEEEELb0EPmSC_PSA_SD_mNS0_19identity_decomposerEEEvT1_T2_T3_T4_jPT5_SK_PNS1_23onesweep_lookback_stateET6_jjj: ; @_ZN7rocprim17ROCPRIM_304000_NS6detail25onesweep_iteration_kernelINS1_34wrapped_radix_sort_onesweep_configINS0_14default_configEmN2at4cuda3cub6detail10OpaqueTypeILi8EEEEELb0EPmSC_PSA_SD_mNS0_19identity_decomposerEEEvT1_T2_T3_T4_jPT5_SK_PNS1_23onesweep_lookback_stateET6_jjj
; %bb.0:
	s_load_dwordx4 s[48:51], s[4:5], 0x44
	s_load_dwordx8 s[36:43], s[4:5], 0x0
	s_load_dwordx4 s[44:47], s[4:5], 0x28
	s_load_dwordx2 s[30:31], s[4:5], 0x38
	s_mov_b64 s[0:1], -1
	s_waitcnt lgkmcnt(0)
	s_cmp_ge_u32 s6, s50
	s_mul_i32 s34, s6, 0xc00
	v_mbcnt_lo_u32_b32 v19, -1, 0
	s_cbranch_scc0 .LBB25_96
; %bb.1:
	s_load_dword s0, s[4:5], 0x20
	s_mul_i32 s1, s50, 0xfffff400
	s_mov_b32 s35, 0
	s_lshl_b64 s[50:51], s[34:35], 3
	v_mbcnt_hi_u32_b32 v22, -1, v19
	s_waitcnt lgkmcnt(0)
	s_add_i32 s35, s1, s0
	s_add_u32 s0, s36, s50
	s_addc_u32 s1, s37, s51
	v_and_b32_e32 v23, 0x1c0, v0
	v_lshlrev_b32_e32 v20, 3, v22
	v_mul_u32_u24_e32 v3, 6, v23
	v_mov_b32_e32 v4, s1
	v_add_co_u32_e32 v5, vcc, s0, v20
	v_addc_co_u32_e32 v4, vcc, 0, v4, vcc
	v_lshlrev_b32_e32 v21, 3, v3
	v_add_co_u32_e32 v15, vcc, v5, v21
	v_addc_co_u32_e32 v16, vcc, 0, v4, vcc
	v_or_b32_e32 v17, v22, v3
	v_mov_b32_e32 v3, -1
	v_mov_b32_e32 v5, -1
	;; [unrolled: 1-line block ×4, first 2 shown]
	v_cmp_gt_u32_e32 vcc, s35, v17
	s_and_saveexec_b64 s[0:1], vcc
	s_cbranch_execz .LBB25_3
; %bb.2:
	global_load_dwordx2 v[5:6], v[15:16], off
.LBB25_3:
	s_or_b64 exec, exec, s[0:1]
	v_add_u32_e32 v7, 64, v17
	v_cmp_gt_u32_e64 s[0:1], s35, v7
	s_and_saveexec_b64 s[2:3], s[0:1]
	s_cbranch_execz .LBB25_5
; %bb.4:
	global_load_dwordx2 v[3:4], v[15:16], off offset:512
.LBB25_5:
	s_or_b64 exec, exec, s[2:3]
	v_add_u32_e32 v11, 0x80, v17
	v_mov_b32_e32 v7, -1
	v_mov_b32_e32 v9, -1
	;; [unrolled: 1-line block ×4, first 2 shown]
	v_cmp_gt_u32_e64 s[2:3], s35, v11
	s_and_saveexec_b64 s[8:9], s[2:3]
	s_cbranch_execz .LBB25_7
; %bb.6:
	global_load_dwordx2 v[9:10], v[15:16], off offset:1024
.LBB25_7:
	s_or_b64 exec, exec, s[8:9]
	v_add_u32_e32 v11, 0xc0, v17
	v_cmp_gt_u32_e64 s[26:27], s35, v11
	s_and_saveexec_b64 s[8:9], s[26:27]
	s_cbranch_execz .LBB25_9
; %bb.8:
	global_load_dwordx2 v[7:8], v[15:16], off offset:1536
.LBB25_9:
	s_or_b64 exec, exec, s[8:9]
	v_add_u32_e32 v18, 0x100, v17
	v_mov_b32_e32 v11, -1
	v_mov_b32_e32 v13, -1
	;; [unrolled: 1-line block ×4, first 2 shown]
	v_cmp_gt_u32_e64 s[8:9], s35, v18
	s_and_saveexec_b64 s[10:11], s[8:9]
	s_cbranch_execz .LBB25_11
; %bb.10:
	global_load_dwordx2 v[13:14], v[15:16], off offset:2048
.LBB25_11:
	s_or_b64 exec, exec, s[10:11]
	v_add_u32_e32 v17, 0x140, v17
	v_cmp_gt_u32_e64 s[10:11], s35, v17
	s_and_saveexec_b64 s[12:13], s[10:11]
	s_cbranch_execz .LBB25_13
; %bb.12:
	global_load_dwordx2 v[11:12], v[15:16], off offset:2560
.LBB25_13:
	s_or_b64 exec, exec, s[12:13]
	s_load_dword s12, s[4:5], 0x5c
	s_load_dword s7, s[4:5], 0x50
	s_add_u32 s13, s4, 0x50
	s_addc_u32 s14, s5, 0
	v_mov_b32_e32 v15, 0
	s_waitcnt lgkmcnt(0)
	s_lshr_b32 s15, s12, 16
	s_cmp_lt_u32 s6, s7
	s_cselect_b32 s12, 12, 18
	s_add_u32 s12, s13, s12
	s_addc_u32 s13, s14, 0
	global_load_ushort v18, v15, s[12:13]
	s_waitcnt vmcnt(1)
	v_lshrrev_b64 v[16:17], s48, v[5:6]
	s_lshl_b32 s12, -1, s49
	s_not_b32 s33, s12
	v_and_b32_e32 v25, s33, v16
	v_and_b32_e32 v26, 1, v25
	v_add_co_u32_e64 v28, s[12:13], -1, v26
	v_lshlrev_b32_e32 v16, 30, v25
	v_addc_co_u32_e64 v29, s[12:13], 0, -1, s[12:13]
	v_mad_u32_u24 v17, v2, s15, v1
	v_cmp_ne_u32_e64 s[12:13], 0, v26
	v_cmp_gt_i64_e64 s[14:15], 0, v[15:16]
	v_not_b32_e32 v26, v16
	v_lshlrev_b32_e32 v16, 29, v25
	v_xor_b32_e32 v29, s13, v29
	v_xor_b32_e32 v28, s12, v28
	v_ashrrev_i32_e32 v26, 31, v26
	v_cmp_gt_i64_e64 s[12:13], 0, v[15:16]
	v_not_b32_e32 v30, v16
	v_lshlrev_b32_e32 v16, 28, v25
	v_and_b32_e32 v29, exec_hi, v29
	v_and_b32_e32 v28, exec_lo, v28
	v_xor_b32_e32 v31, s15, v26
	v_xor_b32_e32 v26, s14, v26
	v_ashrrev_i32_e32 v30, 31, v30
	v_cmp_gt_i64_e64 s[14:15], 0, v[15:16]
	v_not_b32_e32 v32, v16
	v_lshlrev_b32_e32 v16, 27, v25
	v_and_b32_e32 v29, v29, v31
	v_and_b32_e32 v26, v28, v26
	v_xor_b32_e32 v28, s13, v30
	v_xor_b32_e32 v30, s12, v30
	v_ashrrev_i32_e32 v31, 31, v32
	v_cmp_gt_i64_e64 s[12:13], 0, v[15:16]
	v_not_b32_e32 v32, v16
	v_lshlrev_b32_e32 v16, 26, v25
	v_and_b32_e32 v28, v29, v28
	v_and_b32_e32 v26, v26, v30
	;; [unrolled: 8-line block ×3, first 2 shown]
	v_xor_b32_e32 v29, s13, v31
	v_xor_b32_e32 v30, s12, v31
	v_ashrrev_i32_e32 v31, 31, v32
	v_cmp_gt_i64_e64 s[12:13], 0, v[15:16]
	v_not_b32_e32 v32, v16
	v_mul_lo_u32 v27, v25, 36
	v_lshlrev_b32_e32 v16, 24, v25
	v_and_b32_e32 v25, v28, v29
	v_and_b32_e32 v26, v26, v30
	v_xor_b32_e32 v28, s15, v31
	v_xor_b32_e32 v29, s14, v31
	v_ashrrev_i32_e32 v30, 31, v32
	v_and_b32_e32 v25, v25, v28
	v_and_b32_e32 v26, v26, v29
	v_xor_b32_e32 v28, s13, v30
	v_xor_b32_e32 v29, s12, v30
	v_cmp_gt_i64_e64 s[14:15], 0, v[15:16]
	v_not_b32_e32 v16, v16
	v_and_b32_e32 v28, v25, v28
	v_and_b32_e32 v29, v26, v29
	v_ashrrev_i32_e32 v16, 31, v16
	v_xor_b32_e32 v30, s15, v16
	v_xor_b32_e32 v16, s14, v16
	v_and_b32_e32 v16, v29, v16
	v_mul_u32_u24_e32 v24, 20, v0
	ds_write2_b32 v24, v15, v15 offset0:8 offset1:9
	ds_write2_b32 v24, v15, v15 offset0:10 offset1:11
	ds_write_b32 v24, v15 offset:48
	s_waitcnt vmcnt(0) lgkmcnt(0)
	s_barrier
	; wave barrier
	v_mad_u64_u32 v[25:26], s[12:13], v17, v18, v[0:1]
	v_and_b32_e32 v17, v28, v30
	v_cmp_ne_u64_e64 s[12:13], 0, v[16:17]
	v_lshrrev_b32_e32 v18, 4, v25
	v_mbcnt_lo_u32_b32 v25, v16, 0
	v_mbcnt_hi_u32_b32 v25, v17, v25
	v_and_b32_e32 v18, 0xffffffc, v18
	v_cmp_eq_u32_e64 s[14:15], 0, v25
	s_and_b64 s[14:15], s[12:13], s[14:15]
	v_add_u32_e32 v27, v18, v27
	s_and_saveexec_b64 s[12:13], s[14:15]
; %bb.14:
	v_bcnt_u32_b32 v16, v16, 0
	v_bcnt_u32_b32 v16, v17, v16
	ds_write_b32 v27, v16 offset:32
; %bb.15:
	s_or_b64 exec, exec, s[12:13]
	v_lshrrev_b64 v[16:17], s48, v[3:4]
	v_and_b32_e32 v17, s33, v16
	v_mul_lo_u32 v16, v17, 36
	v_and_b32_e32 v29, 1, v17
	; wave barrier
	v_add_u32_e32 v28, v18, v16
	v_add_co_u32_e64 v16, s[12:13], -1, v29
	v_addc_co_u32_e64 v30, s[12:13], 0, -1, s[12:13]
	v_cmp_ne_u32_e64 s[12:13], 0, v29
	v_xor_b32_e32 v16, s12, v16
	v_xor_b32_e32 v29, s13, v30
	v_and_b32_e32 v30, exec_lo, v16
	v_lshlrev_b32_e32 v16, 30, v17
	v_cmp_gt_i64_e64 s[12:13], 0, v[15:16]
	v_not_b32_e32 v16, v16
	v_ashrrev_i32_e32 v16, 31, v16
	v_xor_b32_e32 v31, s13, v16
	v_xor_b32_e32 v16, s12, v16
	v_and_b32_e32 v30, v30, v16
	v_lshlrev_b32_e32 v16, 29, v17
	v_cmp_gt_i64_e64 s[12:13], 0, v[15:16]
	v_not_b32_e32 v16, v16
	v_and_b32_e32 v29, exec_hi, v29
	v_ashrrev_i32_e32 v16, 31, v16
	v_and_b32_e32 v29, v29, v31
	v_xor_b32_e32 v31, s13, v16
	v_xor_b32_e32 v16, s12, v16
	v_and_b32_e32 v30, v30, v16
	v_lshlrev_b32_e32 v16, 28, v17
	v_cmp_gt_i64_e64 s[12:13], 0, v[15:16]
	v_not_b32_e32 v16, v16
	v_ashrrev_i32_e32 v16, 31, v16
	v_and_b32_e32 v29, v29, v31
	v_xor_b32_e32 v31, s13, v16
	v_xor_b32_e32 v16, s12, v16
	v_and_b32_e32 v30, v30, v16
	v_lshlrev_b32_e32 v16, 27, v17
	v_cmp_gt_i64_e64 s[12:13], 0, v[15:16]
	v_not_b32_e32 v16, v16
	;; [unrolled: 8-line block ×5, first 2 shown]
	v_ashrrev_i32_e32 v15, 31, v15
	v_xor_b32_e32 v16, s13, v15
	v_xor_b32_e32 v15, s12, v15
	ds_read_b32 v26, v28 offset:32
	v_and_b32_e32 v29, v29, v31
	v_and_b32_e32 v15, v30, v15
	;; [unrolled: 1-line block ×3, first 2 shown]
	v_mbcnt_lo_u32_b32 v17, v15, 0
	v_mbcnt_hi_u32_b32 v29, v16, v17
	v_cmp_ne_u64_e64 s[12:13], 0, v[15:16]
	v_cmp_eq_u32_e64 s[14:15], 0, v29
	s_and_b64 s[14:15], s[12:13], s[14:15]
	; wave barrier
	s_and_saveexec_b64 s[12:13], s[14:15]
	s_cbranch_execz .LBB25_17
; %bb.16:
	v_bcnt_u32_b32 v15, v15, 0
	v_bcnt_u32_b32 v15, v16, v15
	s_waitcnt lgkmcnt(0)
	v_add_u32_e32 v15, v26, v15
	ds_write_b32 v28, v15 offset:32
.LBB25_17:
	s_or_b64 exec, exec, s[12:13]
	v_lshrrev_b64 v[15:16], s48, v[9:10]
	v_and_b32_e32 v17, s33, v15
	v_mul_lo_u32 v16, v17, 36
	v_and_b32_e32 v32, 1, v17
	v_mov_b32_e32 v15, 0
	; wave barrier
	v_add_u32_e32 v31, v18, v16
	v_add_co_u32_e64 v16, s[12:13], -1, v32
	v_addc_co_u32_e64 v33, s[12:13], 0, -1, s[12:13]
	v_cmp_ne_u32_e64 s[12:13], 0, v32
	v_xor_b32_e32 v16, s12, v16
	v_xor_b32_e32 v32, s13, v33
	v_and_b32_e32 v33, exec_lo, v16
	v_lshlrev_b32_e32 v16, 30, v17
	v_cmp_gt_i64_e64 s[12:13], 0, v[15:16]
	v_not_b32_e32 v16, v16
	v_ashrrev_i32_e32 v16, 31, v16
	v_xor_b32_e32 v34, s13, v16
	v_xor_b32_e32 v16, s12, v16
	v_and_b32_e32 v33, v33, v16
	v_lshlrev_b32_e32 v16, 29, v17
	v_cmp_gt_i64_e64 s[12:13], 0, v[15:16]
	v_not_b32_e32 v16, v16
	v_and_b32_e32 v32, exec_hi, v32
	v_ashrrev_i32_e32 v16, 31, v16
	v_and_b32_e32 v32, v32, v34
	v_xor_b32_e32 v34, s13, v16
	v_xor_b32_e32 v16, s12, v16
	v_and_b32_e32 v33, v33, v16
	v_lshlrev_b32_e32 v16, 28, v17
	v_cmp_gt_i64_e64 s[12:13], 0, v[15:16]
	v_not_b32_e32 v16, v16
	v_ashrrev_i32_e32 v16, 31, v16
	v_and_b32_e32 v32, v32, v34
	v_xor_b32_e32 v34, s13, v16
	v_xor_b32_e32 v16, s12, v16
	v_and_b32_e32 v33, v33, v16
	v_lshlrev_b32_e32 v16, 27, v17
	v_cmp_gt_i64_e64 s[12:13], 0, v[15:16]
	v_not_b32_e32 v16, v16
	;; [unrolled: 8-line block ×5, first 2 shown]
	v_ashrrev_i32_e32 v16, 31, v16
	v_xor_b32_e32 v17, s13, v16
	v_xor_b32_e32 v16, s12, v16
	ds_read_b32 v30, v31 offset:32
	v_and_b32_e32 v32, v32, v34
	v_and_b32_e32 v16, v33, v16
	;; [unrolled: 1-line block ×3, first 2 shown]
	v_mbcnt_lo_u32_b32 v32, v16, 0
	v_mbcnt_hi_u32_b32 v32, v17, v32
	v_cmp_ne_u64_e64 s[12:13], 0, v[16:17]
	v_cmp_eq_u32_e64 s[14:15], 0, v32
	s_and_b64 s[14:15], s[12:13], s[14:15]
	; wave barrier
	s_and_saveexec_b64 s[12:13], s[14:15]
	s_cbranch_execz .LBB25_19
; %bb.18:
	v_bcnt_u32_b32 v16, v16, 0
	v_bcnt_u32_b32 v16, v17, v16
	s_waitcnt lgkmcnt(0)
	v_add_u32_e32 v16, v30, v16
	ds_write_b32 v31, v16 offset:32
.LBB25_19:
	s_or_b64 exec, exec, s[12:13]
	v_lshrrev_b64 v[16:17], s48, v[7:8]
	v_and_b32_e32 v17, s33, v16
	v_mul_lo_u32 v16, v17, 36
	v_and_b32_e32 v35, 1, v17
	; wave barrier
	v_add_u32_e32 v34, v18, v16
	v_add_co_u32_e64 v16, s[12:13], -1, v35
	v_addc_co_u32_e64 v36, s[12:13], 0, -1, s[12:13]
	v_cmp_ne_u32_e64 s[12:13], 0, v35
	v_xor_b32_e32 v16, s12, v16
	v_xor_b32_e32 v35, s13, v36
	v_and_b32_e32 v36, exec_lo, v16
	v_lshlrev_b32_e32 v16, 30, v17
	v_cmp_gt_i64_e64 s[12:13], 0, v[15:16]
	v_not_b32_e32 v16, v16
	v_ashrrev_i32_e32 v16, 31, v16
	v_xor_b32_e32 v37, s13, v16
	v_xor_b32_e32 v16, s12, v16
	v_and_b32_e32 v36, v36, v16
	v_lshlrev_b32_e32 v16, 29, v17
	v_cmp_gt_i64_e64 s[12:13], 0, v[15:16]
	v_not_b32_e32 v16, v16
	v_and_b32_e32 v35, exec_hi, v35
	v_ashrrev_i32_e32 v16, 31, v16
	v_and_b32_e32 v35, v35, v37
	v_xor_b32_e32 v37, s13, v16
	v_xor_b32_e32 v16, s12, v16
	v_and_b32_e32 v36, v36, v16
	v_lshlrev_b32_e32 v16, 28, v17
	v_cmp_gt_i64_e64 s[12:13], 0, v[15:16]
	v_not_b32_e32 v16, v16
	v_ashrrev_i32_e32 v16, 31, v16
	v_and_b32_e32 v35, v35, v37
	v_xor_b32_e32 v37, s13, v16
	v_xor_b32_e32 v16, s12, v16
	v_and_b32_e32 v36, v36, v16
	v_lshlrev_b32_e32 v16, 27, v17
	v_cmp_gt_i64_e64 s[12:13], 0, v[15:16]
	v_not_b32_e32 v16, v16
	;; [unrolled: 8-line block ×5, first 2 shown]
	v_ashrrev_i32_e32 v15, 31, v15
	v_xor_b32_e32 v16, s13, v15
	v_xor_b32_e32 v15, s12, v15
	ds_read_b32 v33, v34 offset:32
	v_and_b32_e32 v35, v35, v37
	v_and_b32_e32 v15, v36, v15
	;; [unrolled: 1-line block ×3, first 2 shown]
	v_mbcnt_lo_u32_b32 v17, v15, 0
	v_mbcnt_hi_u32_b32 v35, v16, v17
	v_cmp_ne_u64_e64 s[12:13], 0, v[15:16]
	v_cmp_eq_u32_e64 s[14:15], 0, v35
	s_and_b64 s[14:15], s[12:13], s[14:15]
	; wave barrier
	s_and_saveexec_b64 s[12:13], s[14:15]
	s_cbranch_execz .LBB25_21
; %bb.20:
	v_bcnt_u32_b32 v15, v15, 0
	v_bcnt_u32_b32 v15, v16, v15
	s_waitcnt lgkmcnt(0)
	v_add_u32_e32 v15, v33, v15
	ds_write_b32 v34, v15 offset:32
.LBB25_21:
	s_or_b64 exec, exec, s[12:13]
	v_lshrrev_b64 v[15:16], s48, v[13:14]
	v_and_b32_e32 v17, s33, v15
	v_mul_lo_u32 v16, v17, 36
	v_and_b32_e32 v38, 1, v17
	v_mov_b32_e32 v15, 0
	; wave barrier
	v_add_u32_e32 v37, v18, v16
	v_add_co_u32_e64 v16, s[12:13], -1, v38
	v_addc_co_u32_e64 v39, s[12:13], 0, -1, s[12:13]
	v_cmp_ne_u32_e64 s[12:13], 0, v38
	v_xor_b32_e32 v16, s12, v16
	v_xor_b32_e32 v38, s13, v39
	v_and_b32_e32 v39, exec_lo, v16
	v_lshlrev_b32_e32 v16, 30, v17
	v_cmp_gt_i64_e64 s[12:13], 0, v[15:16]
	v_not_b32_e32 v16, v16
	v_ashrrev_i32_e32 v16, 31, v16
	v_xor_b32_e32 v40, s13, v16
	v_xor_b32_e32 v16, s12, v16
	v_and_b32_e32 v39, v39, v16
	v_lshlrev_b32_e32 v16, 29, v17
	v_cmp_gt_i64_e64 s[12:13], 0, v[15:16]
	v_not_b32_e32 v16, v16
	v_and_b32_e32 v38, exec_hi, v38
	v_ashrrev_i32_e32 v16, 31, v16
	v_and_b32_e32 v38, v38, v40
	v_xor_b32_e32 v40, s13, v16
	v_xor_b32_e32 v16, s12, v16
	v_and_b32_e32 v39, v39, v16
	v_lshlrev_b32_e32 v16, 28, v17
	v_cmp_gt_i64_e64 s[12:13], 0, v[15:16]
	v_not_b32_e32 v16, v16
	v_ashrrev_i32_e32 v16, 31, v16
	v_and_b32_e32 v38, v38, v40
	v_xor_b32_e32 v40, s13, v16
	v_xor_b32_e32 v16, s12, v16
	v_and_b32_e32 v39, v39, v16
	v_lshlrev_b32_e32 v16, 27, v17
	v_cmp_gt_i64_e64 s[12:13], 0, v[15:16]
	v_not_b32_e32 v16, v16
	;; [unrolled: 8-line block ×5, first 2 shown]
	v_ashrrev_i32_e32 v16, 31, v16
	v_xor_b32_e32 v17, s13, v16
	v_xor_b32_e32 v16, s12, v16
	ds_read_b32 v36, v37 offset:32
	v_and_b32_e32 v38, v38, v40
	v_and_b32_e32 v16, v39, v16
	;; [unrolled: 1-line block ×3, first 2 shown]
	v_mbcnt_lo_u32_b32 v38, v16, 0
	v_mbcnt_hi_u32_b32 v38, v17, v38
	v_cmp_ne_u64_e64 s[12:13], 0, v[16:17]
	v_cmp_eq_u32_e64 s[14:15], 0, v38
	s_and_b64 s[14:15], s[12:13], s[14:15]
	; wave barrier
	s_and_saveexec_b64 s[12:13], s[14:15]
	s_cbranch_execz .LBB25_23
; %bb.22:
	v_bcnt_u32_b32 v16, v16, 0
	v_bcnt_u32_b32 v16, v17, v16
	s_waitcnt lgkmcnt(0)
	v_add_u32_e32 v16, v36, v16
	ds_write_b32 v37, v16 offset:32
.LBB25_23:
	s_or_b64 exec, exec, s[12:13]
	v_lshrrev_b64 v[16:17], s48, v[11:12]
	v_and_b32_e32 v17, s33, v16
	v_mul_lo_u32 v16, v17, 36
	v_and_b32_e32 v41, 1, v17
	; wave barrier
	v_add_u32_e32 v40, v18, v16
	v_add_co_u32_e64 v16, s[12:13], -1, v41
	v_addc_co_u32_e64 v18, s[12:13], 0, -1, s[12:13]
	v_cmp_ne_u32_e64 s[12:13], 0, v41
	v_xor_b32_e32 v16, s12, v16
	v_and_b32_e32 v41, exec_lo, v16
	v_lshlrev_b32_e32 v16, 30, v17
	v_xor_b32_e32 v18, s13, v18
	v_cmp_gt_i64_e64 s[12:13], 0, v[15:16]
	v_not_b32_e32 v16, v16
	v_ashrrev_i32_e32 v16, 31, v16
	v_xor_b32_e32 v42, s13, v16
	v_xor_b32_e32 v16, s12, v16
	v_and_b32_e32 v41, v41, v16
	v_lshlrev_b32_e32 v16, 29, v17
	v_cmp_gt_i64_e64 s[12:13], 0, v[15:16]
	v_not_b32_e32 v16, v16
	v_and_b32_e32 v18, exec_hi, v18
	v_ashrrev_i32_e32 v16, 31, v16
	v_and_b32_e32 v18, v18, v42
	v_xor_b32_e32 v42, s13, v16
	v_xor_b32_e32 v16, s12, v16
	v_and_b32_e32 v41, v41, v16
	v_lshlrev_b32_e32 v16, 28, v17
	v_cmp_gt_i64_e64 s[12:13], 0, v[15:16]
	v_not_b32_e32 v16, v16
	v_ashrrev_i32_e32 v16, 31, v16
	v_and_b32_e32 v18, v18, v42
	v_xor_b32_e32 v42, s13, v16
	v_xor_b32_e32 v16, s12, v16
	v_and_b32_e32 v41, v41, v16
	v_lshlrev_b32_e32 v16, 27, v17
	v_cmp_gt_i64_e64 s[12:13], 0, v[15:16]
	v_not_b32_e32 v16, v16
	;; [unrolled: 8-line block ×5, first 2 shown]
	v_ashrrev_i32_e32 v15, 31, v15
	v_xor_b32_e32 v16, s13, v15
	v_xor_b32_e32 v15, s12, v15
	ds_read_b32 v39, v40 offset:32
	v_and_b32_e32 v18, v18, v42
	v_and_b32_e32 v15, v41, v15
	;; [unrolled: 1-line block ×3, first 2 shown]
	v_mbcnt_lo_u32_b32 v17, v15, 0
	v_mbcnt_hi_u32_b32 v41, v16, v17
	v_cmp_ne_u64_e64 s[12:13], 0, v[15:16]
	v_cmp_eq_u32_e64 s[14:15], 0, v41
	s_and_b64 s[14:15], s[12:13], s[14:15]
	; wave barrier
	s_and_saveexec_b64 s[12:13], s[14:15]
	s_cbranch_execz .LBB25_25
; %bb.24:
	v_bcnt_u32_b32 v15, v15, 0
	v_bcnt_u32_b32 v15, v16, v15
	s_waitcnt lgkmcnt(0)
	v_add_u32_e32 v15, v39, v15
	ds_write_b32 v40, v15 offset:32
.LBB25_25:
	s_or_b64 exec, exec, s[12:13]
	; wave barrier
	s_waitcnt lgkmcnt(0)
	s_barrier
	ds_read2_b32 v[17:18], v24 offset0:8 offset1:9
	ds_read2_b32 v[15:16], v24 offset0:10 offset1:11
	ds_read_b32 v42, v24 offset:48
	v_min_u32_e32 v23, 0x1c0, v23
	v_or_b32_e32 v23, 63, v23
	s_waitcnt lgkmcnt(1)
	v_add3_u32 v43, v18, v17, v15
	s_waitcnt lgkmcnt(0)
	v_add3_u32 v42, v43, v16, v42
	v_and_b32_e32 v43, 15, v22
	v_cmp_ne_u32_e64 s[12:13], 0, v43
	v_mov_b32_dpp v44, v42 row_shr:1 row_mask:0xf bank_mask:0xf
	v_cndmask_b32_e64 v44, 0, v44, s[12:13]
	v_add_u32_e32 v42, v44, v42
	v_cmp_lt_u32_e64 s[12:13], 1, v43
	s_nop 0
	v_mov_b32_dpp v44, v42 row_shr:2 row_mask:0xf bank_mask:0xf
	v_cndmask_b32_e64 v44, 0, v44, s[12:13]
	v_add_u32_e32 v42, v42, v44
	v_cmp_lt_u32_e64 s[12:13], 3, v43
	s_nop 0
	;; [unrolled: 5-line block ×3, first 2 shown]
	v_mov_b32_dpp v44, v42 row_shr:8 row_mask:0xf bank_mask:0xf
	v_cndmask_b32_e64 v43, 0, v44, s[12:13]
	v_add_u32_e32 v42, v42, v43
	v_bfe_i32 v44, v22, 4, 1
	v_cmp_lt_u32_e64 s[12:13], 31, v22
	v_mov_b32_dpp v43, v42 row_bcast:15 row_mask:0xf bank_mask:0xf
	v_and_b32_e32 v43, v44, v43
	v_add_u32_e32 v42, v42, v43
	s_nop 1
	v_mov_b32_dpp v43, v42 row_bcast:31 row_mask:0xf bank_mask:0xf
	v_cndmask_b32_e64 v43, 0, v43, s[12:13]
	v_add_u32_e32 v42, v42, v43
	v_lshrrev_b32_e32 v43, 6, v0
	v_cmp_eq_u32_e64 s[12:13], v0, v23
	s_and_saveexec_b64 s[14:15], s[12:13]
; %bb.26:
	v_lshlrev_b32_e32 v23, 2, v43
	ds_write_b32 v23, v42
; %bb.27:
	s_or_b64 exec, exec, s[14:15]
	v_cmp_gt_u32_e64 s[12:13], 8, v0
	s_waitcnt lgkmcnt(0)
	s_barrier
	s_and_saveexec_b64 s[14:15], s[12:13]
	s_cbranch_execz .LBB25_29
; %bb.28:
	v_lshlrev_b32_e32 v23, 2, v0
	ds_read_b32 v44, v23
	v_and_b32_e32 v45, 7, v22
	v_cmp_ne_u32_e64 s[12:13], 0, v45
	s_waitcnt lgkmcnt(0)
	v_mov_b32_dpp v46, v44 row_shr:1 row_mask:0xf bank_mask:0xf
	v_cndmask_b32_e64 v46, 0, v46, s[12:13]
	v_add_u32_e32 v44, v46, v44
	v_cmp_lt_u32_e64 s[12:13], 1, v45
	s_nop 0
	v_mov_b32_dpp v46, v44 row_shr:2 row_mask:0xf bank_mask:0xf
	v_cndmask_b32_e64 v46, 0, v46, s[12:13]
	v_add_u32_e32 v44, v44, v46
	v_cmp_lt_u32_e64 s[12:13], 3, v45
	s_nop 0
	v_mov_b32_dpp v46, v44 row_shr:4 row_mask:0xf bank_mask:0xf
	v_cndmask_b32_e64 v45, 0, v46, s[12:13]
	v_add_u32_e32 v44, v44, v45
	ds_write_b32 v23, v44
.LBB25_29:
	s_or_b64 exec, exec, s[14:15]
	v_cmp_lt_u32_e64 s[12:13], 63, v0
	v_mov_b32_e32 v23, 0
	s_waitcnt lgkmcnt(0)
	s_barrier
	s_and_saveexec_b64 s[14:15], s[12:13]
; %bb.30:
	v_lshl_add_u32 v23, v43, 2, -4
	ds_read_b32 v23, v23
; %bb.31:
	s_or_b64 exec, exec, s[14:15]
	v_add_u32_e32 v43, -1, v22
	v_and_b32_e32 v44, 64, v22
	v_cmp_lt_i32_e64 s[12:13], v43, v44
	v_cndmask_b32_e64 v43, v43, v22, s[12:13]
	s_waitcnt lgkmcnt(0)
	v_add_u32_e32 v42, v23, v42
	v_lshlrev_b32_e32 v43, 2, v43
	ds_bpermute_b32 v42, v43, v42
	v_cmp_eq_u32_e64 s[12:13], 0, v22
	s_movk_i32 s16, 0x100
	v_cmp_gt_u32_e64 s[14:15], s16, v0
	s_waitcnt lgkmcnt(0)
	v_cndmask_b32_e64 v22, v42, v23, s[12:13]
	v_cmp_ne_u32_e64 s[12:13], 0, v0
	v_cndmask_b32_e64 v22, 0, v22, s[12:13]
	v_add_u32_e32 v17, v22, v17
	v_add_u32_e32 v18, v17, v18
	;; [unrolled: 1-line block ×4, first 2 shown]
	ds_write2_b32 v24, v22, v17 offset0:8 offset1:9
	ds_write2_b32 v24, v18, v15 offset0:10 offset1:11
	ds_write_b32 v24, v16 offset:48
	s_waitcnt lgkmcnt(0)
	s_barrier
	ds_read_b32 v24, v27 offset:32
	ds_read_b32 v28, v28 offset:32
	;; [unrolled: 1-line block ×6, first 2 shown]
	s_movk_i32 s12, 0xff
	v_mov_b32_e32 v15, 0
	v_cmp_lt_u32_e64 s[12:13], s12, v0
	v_mov_b32_e32 v16, 0
                                        ; implicit-def: $vgpr22
	s_and_saveexec_b64 s[18:19], s[14:15]
	s_cbranch_execz .LBB25_35
; %bb.32:
	v_mul_u32_u24_e32 v15, 36, v0
	ds_read_b32 v15, v15 offset:32
	v_add_u32_e32 v22, 1, v0
	v_cmp_ne_u32_e64 s[16:17], s16, v22
	v_mov_b32_e32 v16, 0xc00
	s_and_saveexec_b64 s[20:21], s[16:17]
; %bb.33:
	v_mul_u32_u24_e32 v16, 36, v22
	ds_read_b32 v16, v16 offset:32
; %bb.34:
	s_or_b64 exec, exec, s[20:21]
	s_waitcnt lgkmcnt(0)
	v_sub_u32_e32 v22, v16, v15
	v_mov_b32_e32 v16, 0
.LBB25_35:
	s_or_b64 exec, exec, s[18:19]
	v_lshlrev_b32_e32 v25, 3, v25
	s_waitcnt lgkmcnt(5)
	v_lshl_add_u32 v24, v24, 3, v25
	s_waitcnt lgkmcnt(0)
	s_barrier
	ds_write_b64 v24, v[5:6] offset:2048
	v_lshlrev_b32_e32 v5, 3, v29
	v_lshlrev_b32_e32 v6, 3, v26
	;; [unrolled: 1-line block ×3, first 2 shown]
	v_add3_u32 v25, v5, v6, v25
	ds_write_b64 v25, v[3:4] offset:2048
	v_lshlrev_b32_e32 v3, 3, v32
	v_lshlrev_b32_e32 v4, 3, v30
	v_lshlrev_b32_e32 v5, 3, v27
	v_add3_u32 v26, v3, v4, v5
	v_lshlrev_b32_e32 v3, 3, v35
	v_lshlrev_b32_e32 v4, 3, v33
	v_lshlrev_b32_e32 v5, 3, v23
	v_add3_u32 v27, v3, v4, v5
	;; [unrolled: 4-line block ×4, first 2 shown]
	v_mov_b32_e32 v4, 0
	v_lshlrev_b32_e32 v23, 3, v0
	ds_write_b64 v26, v[9:10] offset:2048
	ds_write_b64 v27, v[7:8] offset:2048
	;; [unrolled: 1-line block ×4, first 2 shown]
	s_waitcnt lgkmcnt(0)
	s_barrier
	s_and_saveexec_b64 s[16:17], s[14:15]
	s_cbranch_execz .LBB25_45
; %bb.36:
	v_lshl_add_u32 v3, s6, 8, v0
	v_lshlrev_b64 v[5:6], 2, v[3:4]
	v_mov_b32_e32 v9, s31
	v_add_co_u32_e64 v5, s[14:15], s30, v5
	v_addc_co_u32_e64 v6, s[14:15], v9, v6, s[14:15]
	v_or_b32_e32 v3, 2.0, v22
	s_mov_b64 s[18:19], 0
	s_brev_b32 s24, -4
	s_mov_b32 s25, s6
	v_mov_b32_e32 v10, 0
	global_store_dword v[5:6], v3, off
                                        ; implicit-def: $sgpr14_sgpr15
	s_branch .LBB25_39
.LBB25_37:                              ;   in Loop: Header=BB25_39 Depth=1
	s_or_b64 exec, exec, s[22:23]
.LBB25_38:                              ;   in Loop: Header=BB25_39 Depth=1
	s_or_b64 exec, exec, s[20:21]
	v_and_b32_e32 v7, 0x3fffffff, v3
	v_add_u32_e32 v10, v7, v10
	v_cmp_gt_i32_e64 s[14:15], -2.0, v3
	s_and_b64 s[20:21], exec, s[14:15]
	s_or_b64 s[18:19], s[20:21], s[18:19]
	s_andn2_b64 exec, exec, s[18:19]
	s_cbranch_execz .LBB25_44
.LBB25_39:                              ; =>This Loop Header: Depth=1
                                        ;     Child Loop BB25_42 Depth 2
	s_or_b64 s[14:15], s[14:15], exec
	s_cmp_eq_u32 s25, 0
	s_cbranch_scc1 .LBB25_43
; %bb.40:                               ;   in Loop: Header=BB25_39 Depth=1
	s_add_i32 s25, s25, -1
	v_lshl_or_b32 v3, s25, 8, v0
	v_lshlrev_b64 v[7:8], 2, v[3:4]
	v_add_co_u32_e64 v7, s[14:15], s30, v7
	v_addc_co_u32_e64 v8, s[14:15], v9, v8, s[14:15]
	global_load_dword v3, v[7:8], off glc
	s_waitcnt vmcnt(0)
	v_cmp_gt_u32_e64 s[14:15], 2.0, v3
	s_and_saveexec_b64 s[20:21], s[14:15]
	s_cbranch_execz .LBB25_38
; %bb.41:                               ;   in Loop: Header=BB25_39 Depth=1
	s_mov_b64 s[22:23], 0
.LBB25_42:                              ;   Parent Loop BB25_39 Depth=1
                                        ; =>  This Inner Loop Header: Depth=2
	global_load_dword v3, v[7:8], off glc
	s_waitcnt vmcnt(0)
	v_cmp_lt_u32_e64 s[14:15], s24, v3
	s_or_b64 s[22:23], s[14:15], s[22:23]
	s_andn2_b64 exec, exec, s[22:23]
	s_cbranch_execnz .LBB25_42
	s_branch .LBB25_37
.LBB25_43:                              ;   in Loop: Header=BB25_39 Depth=1
                                        ; implicit-def: $sgpr25
	s_and_b64 s[20:21], exec, s[14:15]
	s_or_b64 s[18:19], s[20:21], s[18:19]
	s_andn2_b64 exec, exec, s[18:19]
	s_cbranch_execnz .LBB25_39
.LBB25_44:
	s_or_b64 exec, exec, s[18:19]
	v_add_u32_e32 v3, v10, v22
	v_or_b32_e32 v3, 0x80000000, v3
	global_store_dword v[5:6], v3, off
	global_load_dwordx2 v[3:4], v23, s[44:45]
	v_sub_co_u32_e64 v5, s[14:15], v10, v15
	v_subb_co_u32_e64 v6, s[14:15], 0, v16, s[14:15]
	s_waitcnt vmcnt(0)
	v_add_co_u32_e64 v3, s[14:15], v5, v3
	v_addc_co_u32_e64 v4, s[14:15], v6, v4, s[14:15]
	ds_write_b64 v23, v[3:4]
.LBB25_45:
	s_or_b64 exec, exec, s[16:17]
	v_cmp_gt_u32_e64 s[14:15], s35, v0
	s_waitcnt lgkmcnt(0)
	s_barrier
	s_and_saveexec_b64 s[18:19], s[14:15]
	s_cbranch_execz .LBB25_47
; %bb.46:
	ds_read_b64 v[3:4], v23 offset:2048
	v_mov_b32_e32 v7, s39
	s_waitcnt lgkmcnt(0)
	v_lshrrev_b64 v[5:6], s48, v[3:4]
	v_and_b32_e32 v5, s33, v5
	v_lshlrev_b32_e32 v5, 3, v5
	ds_read_b64 v[5:6], v5
	s_waitcnt lgkmcnt(0)
	v_lshlrev_b64 v[5:6], 3, v[5:6]
	v_add_co_u32_e64 v5, s[16:17], s38, v5
	v_addc_co_u32_e64 v6, s[16:17], v7, v6, s[16:17]
	v_add_co_u32_e64 v5, s[16:17], v5, v23
	v_addc_co_u32_e64 v6, s[16:17], 0, v6, s[16:17]
	global_store_dwordx2 v[5:6], v[3:4], off
.LBB25_47:
	s_or_b64 exec, exec, s[18:19]
	v_or_b32_e32 v3, 0x200, v0
	v_cmp_gt_u32_e64 s[16:17], s35, v3
	v_lshlrev_b32_e32 v30, 3, v3
	s_and_saveexec_b64 s[20:21], s[16:17]
	s_cbranch_execz .LBB25_49
; %bb.48:
	ds_read_b64 v[3:4], v23 offset:6144
	v_mov_b32_e32 v7, s39
	s_waitcnt lgkmcnt(0)
	v_lshrrev_b64 v[5:6], s48, v[3:4]
	v_and_b32_e32 v5, s33, v5
	v_lshlrev_b32_e32 v5, 3, v5
	ds_read_b64 v[5:6], v5
	s_waitcnt lgkmcnt(0)
	v_lshlrev_b64 v[5:6], 3, v[5:6]
	v_add_co_u32_e64 v5, s[18:19], s38, v5
	v_addc_co_u32_e64 v6, s[18:19], v7, v6, s[18:19]
	v_add_co_u32_e64 v5, s[18:19], v5, v30
	v_addc_co_u32_e64 v6, s[18:19], 0, v6, s[18:19]
	global_store_dwordx2 v[5:6], v[3:4], off
.LBB25_49:
	s_or_b64 exec, exec, s[20:21]
	v_or_b32_e32 v3, 0x400, v0
	v_cmp_gt_u32_e64 s[18:19], s35, v3
	v_lshlrev_b32_e32 v31, 3, v3
	;; [unrolled: 22-line block ×5, first 2 shown]
	s_and_saveexec_b64 s[52:53], s[24:25]
	s_cbranch_execz .LBB25_57
; %bb.56:
	ds_read_b64 v[3:4], v23 offset:22528
	v_mov_b32_e32 v7, s39
	s_waitcnt lgkmcnt(0)
	v_lshrrev_b64 v[5:6], s48, v[3:4]
	v_and_b32_e32 v5, s33, v5
	v_lshlrev_b32_e32 v5, 3, v5
	ds_read_b64 v[5:6], v5
	s_waitcnt lgkmcnt(0)
	v_lshlrev_b64 v[5:6], 3, v[5:6]
	v_add_co_u32_e64 v5, s[28:29], s38, v5
	v_addc_co_u32_e64 v6, s[28:29], v7, v6, s[28:29]
	v_add_co_u32_e64 v5, s[28:29], v5, v34
	v_addc_co_u32_e64 v6, s[28:29], 0, v6, s[28:29]
	global_store_dwordx2 v[5:6], v[3:4], off
.LBB25_57:
	s_or_b64 exec, exec, s[52:53]
	s_add_u32 s28, s40, s50
	s_addc_u32 s29, s41, s51
	v_mov_b32_e32 v3, s29
	v_add_co_u32_e64 v4, s[28:29], s28, v20
	v_addc_co_u32_e64 v3, s[28:29], 0, v3, s[28:29]
	v_add_co_u32_e64 v17, s[28:29], v4, v21
	v_addc_co_u32_e64 v18, s[28:29], 0, v3, s[28:29]
                                        ; implicit-def: $vgpr3_vgpr4
	s_and_saveexec_b64 s[28:29], vcc
	s_xor_b64 s[28:29], exec, s[28:29]
	s_cbranch_execz .LBB25_63
; %bb.58:
	global_load_dwordx2 v[3:4], v[17:18], off
	s_or_b64 exec, exec, s[28:29]
                                        ; implicit-def: $vgpr5_vgpr6
	s_and_saveexec_b64 s[28:29], s[0:1]
	s_cbranch_execnz .LBB25_64
.LBB25_59:
	s_or_b64 exec, exec, s[28:29]
                                        ; implicit-def: $vgpr7_vgpr8
	s_and_saveexec_b64 s[0:1], s[2:3]
	s_cbranch_execz .LBB25_65
.LBB25_60:
	global_load_dwordx2 v[7:8], v[17:18], off offset:1024
	s_or_b64 exec, exec, s[0:1]
                                        ; implicit-def: $vgpr9_vgpr10
	s_and_saveexec_b64 s[0:1], s[26:27]
	s_cbranch_execnz .LBB25_66
.LBB25_61:
	s_or_b64 exec, exec, s[0:1]
                                        ; implicit-def: $vgpr11_vgpr12
	s_and_saveexec_b64 s[0:1], s[8:9]
	s_cbranch_execz .LBB25_67
.LBB25_62:
	global_load_dwordx2 v[11:12], v[17:18], off offset:2048
	s_or_b64 exec, exec, s[0:1]
                                        ; implicit-def: $vgpr13_vgpr14
	s_and_saveexec_b64 s[0:1], s[10:11]
	s_cbranch_execnz .LBB25_68
	s_branch .LBB25_69
.LBB25_63:
	s_or_b64 exec, exec, s[28:29]
                                        ; implicit-def: $vgpr5_vgpr6
	s_and_saveexec_b64 s[28:29], s[0:1]
	s_cbranch_execz .LBB25_59
.LBB25_64:
	global_load_dwordx2 v[5:6], v[17:18], off offset:512
	s_or_b64 exec, exec, s[28:29]
                                        ; implicit-def: $vgpr7_vgpr8
	s_and_saveexec_b64 s[0:1], s[2:3]
	s_cbranch_execnz .LBB25_60
.LBB25_65:
	s_or_b64 exec, exec, s[0:1]
                                        ; implicit-def: $vgpr9_vgpr10
	s_and_saveexec_b64 s[0:1], s[26:27]
	s_cbranch_execz .LBB25_61
.LBB25_66:
	global_load_dwordx2 v[9:10], v[17:18], off offset:1536
	s_or_b64 exec, exec, s[0:1]
                                        ; implicit-def: $vgpr11_vgpr12
	s_and_saveexec_b64 s[0:1], s[8:9]
	s_cbranch_execnz .LBB25_62
.LBB25_67:
	s_or_b64 exec, exec, s[0:1]
                                        ; implicit-def: $vgpr13_vgpr14
	s_and_saveexec_b64 s[0:1], s[10:11]
	s_cbranch_execz .LBB25_69
.LBB25_68:
	global_load_dwordx2 v[13:14], v[17:18], off offset:2560
.LBB25_69:
	s_or_b64 exec, exec, s[0:1]
	v_mov_b32_e32 v21, 0
	v_mov_b32_e32 v36, 0
	s_and_saveexec_b64 s[0:1], s[14:15]
	s_cbranch_execz .LBB25_71
; %bb.70:
	ds_read_b64 v[17:18], v23 offset:2048
	s_waitcnt lgkmcnt(0)
	v_lshrrev_b64 v[17:18], s48, v[17:18]
	v_and_b32_e32 v36, s33, v17
.LBB25_71:
	s_or_b64 exec, exec, s[0:1]
	s_and_saveexec_b64 s[0:1], s[16:17]
	s_cbranch_execz .LBB25_73
; %bb.72:
	ds_read_b64 v[17:18], v23 offset:6144
	s_waitcnt lgkmcnt(0)
	v_lshrrev_b64 v[17:18], s48, v[17:18]
	v_and_b32_e32 v21, s33, v17
.LBB25_73:
	s_or_b64 exec, exec, s[0:1]
	v_mov_b32_e32 v18, 0
	v_mov_b32_e32 v35, 0
	s_and_saveexec_b64 s[0:1], s[18:19]
	s_cbranch_execz .LBB25_75
; %bb.74:
	ds_read_b64 v[37:38], v23 offset:10240
	s_waitcnt lgkmcnt(0)
	v_lshrrev_b64 v[37:38], s48, v[37:38]
	v_and_b32_e32 v35, s33, v37
.LBB25_75:
	s_or_b64 exec, exec, s[0:1]
	s_and_saveexec_b64 s[0:1], s[20:21]
	s_cbranch_execz .LBB25_77
; %bb.76:
	ds_read_b64 v[17:18], v23 offset:14336
	s_waitcnt lgkmcnt(0)
	v_lshrrev_b64 v[17:18], s48, v[17:18]
	v_and_b32_e32 v18, s33, v17
.LBB25_77:
	;; [unrolled: 20-line block ×3, first 2 shown]
	s_or_b64 exec, exec, s[0:1]
	s_waitcnt vmcnt(0)
	s_barrier
	ds_write_b64 v24, v[3:4] offset:2048
	ds_write_b64 v25, v[5:6] offset:2048
	;; [unrolled: 1-line block ×6, first 2 shown]
	s_waitcnt lgkmcnt(0)
	s_barrier
	s_and_saveexec_b64 s[0:1], s[14:15]
	s_cbranch_execz .LBB25_87
; %bb.82:
	v_lshlrev_b32_e32 v3, 3, v36
	ds_read_b64 v[3:4], v3
	ds_read_b64 v[5:6], v23 offset:2048
	v_mov_b32_e32 v7, s43
	s_waitcnt lgkmcnt(1)
	v_lshlrev_b64 v[3:4], 3, v[3:4]
	v_add_co_u32_e32 v3, vcc, s42, v3
	v_addc_co_u32_e32 v4, vcc, v7, v4, vcc
	v_add_co_u32_e32 v3, vcc, v3, v23
	v_addc_co_u32_e32 v4, vcc, 0, v4, vcc
	s_waitcnt lgkmcnt(0)
	global_store_dwordx2 v[3:4], v[5:6], off
	s_or_b64 exec, exec, s[0:1]
	s_and_saveexec_b64 s[0:1], s[16:17]
	s_cbranch_execnz .LBB25_88
.LBB25_83:
	s_or_b64 exec, exec, s[0:1]
	s_and_saveexec_b64 s[0:1], s[18:19]
	s_cbranch_execz .LBB25_89
.LBB25_84:
	v_lshlrev_b32_e32 v3, 3, v35
	ds_read_b64 v[3:4], v3
	ds_read_b64 v[5:6], v23 offset:10240
	v_mov_b32_e32 v7, s43
	s_waitcnt lgkmcnt(1)
	v_lshlrev_b64 v[3:4], 3, v[3:4]
	v_add_co_u32_e32 v3, vcc, s42, v3
	v_addc_co_u32_e32 v4, vcc, v7, v4, vcc
	v_add_co_u32_e32 v3, vcc, v3, v31
	v_addc_co_u32_e32 v4, vcc, 0, v4, vcc
	s_waitcnt lgkmcnt(0)
	global_store_dwordx2 v[3:4], v[5:6], off
	s_or_b64 exec, exec, s[0:1]
	s_and_saveexec_b64 s[0:1], s[20:21]
	s_cbranch_execnz .LBB25_90
.LBB25_85:
	s_or_b64 exec, exec, s[0:1]
	s_and_saveexec_b64 s[0:1], s[22:23]
	s_cbranch_execz .LBB25_91
.LBB25_86:
	v_lshlrev_b32_e32 v3, 3, v20
	ds_read_b64 v[3:4], v3
	ds_read_b64 v[5:6], v23 offset:18432
	v_mov_b32_e32 v7, s43
	s_waitcnt lgkmcnt(1)
	v_lshlrev_b64 v[3:4], 3, v[3:4]
	v_add_co_u32_e32 v3, vcc, s42, v3
	v_addc_co_u32_e32 v4, vcc, v7, v4, vcc
	v_add_co_u32_e32 v3, vcc, v3, v33
	v_addc_co_u32_e32 v4, vcc, 0, v4, vcc
	s_waitcnt lgkmcnt(0)
	global_store_dwordx2 v[3:4], v[5:6], off
	s_or_b64 exec, exec, s[0:1]
	s_and_saveexec_b64 s[0:1], s[24:25]
	s_cbranch_execnz .LBB25_92
	s_branch .LBB25_93
.LBB25_87:
	s_or_b64 exec, exec, s[0:1]
	s_and_saveexec_b64 s[0:1], s[16:17]
	s_cbranch_execz .LBB25_83
.LBB25_88:
	v_lshlrev_b32_e32 v3, 3, v21
	ds_read_b64 v[3:4], v3
	ds_read_b64 v[5:6], v23 offset:6144
	v_mov_b32_e32 v7, s43
	s_waitcnt lgkmcnt(1)
	v_lshlrev_b64 v[3:4], 3, v[3:4]
	v_add_co_u32_e32 v3, vcc, s42, v3
	v_addc_co_u32_e32 v4, vcc, v7, v4, vcc
	v_add_co_u32_e32 v3, vcc, v3, v30
	v_addc_co_u32_e32 v4, vcc, 0, v4, vcc
	s_waitcnt lgkmcnt(0)
	global_store_dwordx2 v[3:4], v[5:6], off
	s_or_b64 exec, exec, s[0:1]
	s_and_saveexec_b64 s[0:1], s[18:19]
	s_cbranch_execnz .LBB25_84
.LBB25_89:
	s_or_b64 exec, exec, s[0:1]
	s_and_saveexec_b64 s[0:1], s[20:21]
	s_cbranch_execz .LBB25_85
.LBB25_90:
	v_lshlrev_b32_e32 v3, 3, v18
	ds_read_b64 v[3:4], v3
	ds_read_b64 v[5:6], v23 offset:14336
	v_mov_b32_e32 v7, s43
	s_waitcnt lgkmcnt(1)
	v_lshlrev_b64 v[3:4], 3, v[3:4]
	v_add_co_u32_e32 v3, vcc, s42, v3
	v_addc_co_u32_e32 v4, vcc, v7, v4, vcc
	v_add_co_u32_e32 v3, vcc, v3, v32
	v_addc_co_u32_e32 v4, vcc, 0, v4, vcc
	s_waitcnt lgkmcnt(0)
	global_store_dwordx2 v[3:4], v[5:6], off
	s_or_b64 exec, exec, s[0:1]
	s_and_saveexec_b64 s[0:1], s[22:23]
	s_cbranch_execnz .LBB25_86
.LBB25_91:
	s_or_b64 exec, exec, s[0:1]
	s_and_saveexec_b64 s[0:1], s[24:25]
	s_cbranch_execz .LBB25_93
.LBB25_92:
	v_lshlrev_b32_e32 v3, 3, v17
	ds_read_b64 v[3:4], v3
	ds_read_b64 v[5:6], v23 offset:22528
	v_mov_b32_e32 v7, s43
	s_waitcnt lgkmcnt(1)
	v_lshlrev_b64 v[3:4], 3, v[3:4]
	v_add_co_u32_e32 v3, vcc, s42, v3
	v_addc_co_u32_e32 v4, vcc, v7, v4, vcc
	v_add_co_u32_e32 v3, vcc, v3, v34
	v_addc_co_u32_e32 v4, vcc, 0, v4, vcc
	s_waitcnt lgkmcnt(0)
	global_store_dwordx2 v[3:4], v[5:6], off
.LBB25_93:
	s_or_b64 exec, exec, s[0:1]
	s_add_i32 s7, s7, -1
	s_cmp_eq_u32 s6, s7
	s_cselect_b64 s[0:1], -1, 0
	s_xor_b64 s[2:3], s[12:13], -1
	s_and_b64 s[2:3], s[2:3], s[0:1]
	s_and_saveexec_b64 s[0:1], s[2:3]
	s_cbranch_execz .LBB25_95
; %bb.94:
	ds_read_b64 v[3:4], v23
	v_add_co_u32_e32 v5, vcc, v15, v22
	v_addc_co_u32_e32 v6, vcc, 0, v16, vcc
	s_waitcnt lgkmcnt(0)
	v_add_co_u32_e32 v3, vcc, v5, v3
	v_addc_co_u32_e32 v4, vcc, v6, v4, vcc
	global_store_dwordx2 v23, v[3:4], s[46:47]
.LBB25_95:
	s_or_b64 exec, exec, s[0:1]
	s_mov_b64 s[0:1], 0
.LBB25_96:
	s_and_b64 vcc, exec, s[0:1]
	s_cbranch_vccz .LBB25_131
; %bb.97:
	s_mov_b32 s35, 0
	s_lshl_b64 s[8:9], s[34:35], 3
	v_mbcnt_hi_u32_b32 v19, -1, v19
	s_add_u32 s0, s36, s8
	v_lshlrev_b32_e32 v17, 3, v19
	v_add_co_u32_e32 v5, vcc, s0, v17
	s_load_dword s7, s[4:5], 0x50
	s_load_dword s0, s[4:5], 0x5c
	s_addc_u32 s1, s37, s9
	v_and_b32_e32 v21, 0x1c0, v0
	v_mov_b32_e32 v4, s1
	s_add_u32 s1, s4, 0x50
	v_mul_u32_u24_e32 v3, 6, v21
	s_addc_u32 s2, s5, 0
	s_waitcnt lgkmcnt(0)
	s_lshr_b32 s3, s0, 16
	v_addc_co_u32_e32 v4, vcc, 0, v4, vcc
	v_lshlrev_b32_e32 v18, 3, v3
	s_cmp_lt_u32 s6, s7
	v_add_co_u32_e32 v14, vcc, v5, v18
	s_cselect_b32 s0, 12, 18
	v_addc_co_u32_e32 v15, vcc, 0, v4, vcc
	s_add_u32 s0, s1, s0
	v_mov_b32_e32 v13, 0
	global_load_dwordx2 v[3:4], v[14:15], off
	s_addc_u32 s1, s2, 0
	v_mul_u32_u24_e32 v20, 20, v0
	global_load_ushort v16, v13, s[0:1]
	ds_write2_b32 v20, v13, v13 offset0:8 offset1:9
	ds_write2_b32 v20, v13, v13 offset0:10 offset1:11
	ds_write_b32 v20, v13 offset:48
	v_mad_u32_u24 v22, v2, s3, v1
	global_load_dwordx2 v[11:12], v[14:15], off offset:512
	global_load_dwordx2 v[9:10], v[14:15], off offset:1024
	;; [unrolled: 1-line block ×5, first 2 shown]
	s_lshl_b32 s0, -1, s49
	s_not_b32 s14, s0
	s_waitcnt vmcnt(0) lgkmcnt(0)
	s_barrier
	; wave barrier
	v_lshrrev_b64 v[14:15], s48, v[3:4]
	v_and_b32_e32 v23, s14, v14
	v_lshlrev_b32_e32 v14, 30, v23
	v_mul_lo_u32 v24, v23, 36
	v_mad_u64_u32 v[15:16], s[0:1], v22, v16, v[0:1]
	v_and_b32_e32 v16, 1, v23
	v_add_co_u32_e32 v22, vcc, -1, v16
	v_addc_co_u32_e64 v25, s[0:1], 0, -1, vcc
	v_cmp_ne_u32_e32 vcc, 0, v16
	v_cmp_gt_i64_e64 s[0:1], 0, v[13:14]
	v_not_b32_e32 v16, v14
	v_lshlrev_b32_e32 v14, 29, v23
	v_xor_b32_e32 v25, vcc_hi, v25
	v_xor_b32_e32 v22, vcc_lo, v22
	v_ashrrev_i32_e32 v16, 31, v16
	v_cmp_gt_i64_e32 vcc, 0, v[13:14]
	v_not_b32_e32 v26, v14
	v_lshlrev_b32_e32 v14, 28, v23
	v_and_b32_e32 v25, exec_hi, v25
	v_and_b32_e32 v22, exec_lo, v22
	v_xor_b32_e32 v27, s1, v16
	v_xor_b32_e32 v16, s0, v16
	v_ashrrev_i32_e32 v26, 31, v26
	v_cmp_gt_i64_e64 s[0:1], 0, v[13:14]
	v_not_b32_e32 v28, v14
	v_lshlrev_b32_e32 v14, 27, v23
	v_lshrrev_b32_e32 v15, 4, v15
	v_and_b32_e32 v25, v25, v27
	v_and_b32_e32 v22, v22, v16
	v_xor_b32_e32 v27, vcc_hi, v26
	v_xor_b32_e32 v26, vcc_lo, v26
	v_ashrrev_i32_e32 v28, 31, v28
	v_cmp_gt_i64_e32 vcc, 0, v[13:14]
	v_not_b32_e32 v29, v14
	v_lshlrev_b32_e32 v14, 26, v23
	v_and_b32_e32 v16, 0xffffffc, v15
	v_and_b32_e32 v15, v25, v27
	;; [unrolled: 1-line block ×3, first 2 shown]
	v_xor_b32_e32 v25, s1, v28
	v_xor_b32_e32 v26, s0, v28
	v_ashrrev_i32_e32 v27, 31, v29
	v_cmp_gt_i64_e64 s[0:1], 0, v[13:14]
	v_not_b32_e32 v14, v14
	v_and_b32_e32 v15, v15, v25
	v_and_b32_e32 v22, v22, v26
	v_xor_b32_e32 v25, vcc_hi, v27
	v_xor_b32_e32 v26, vcc_lo, v27
	v_ashrrev_i32_e32 v14, 31, v14
	v_and_b32_e32 v15, v15, v25
	v_and_b32_e32 v22, v22, v26
	v_xor_b32_e32 v25, s1, v14
	v_xor_b32_e32 v14, s0, v14
	v_and_b32_e32 v22, v22, v14
	v_lshlrev_b32_e32 v14, 25, v23
	v_cmp_gt_i64_e32 vcc, 0, v[13:14]
	v_not_b32_e32 v14, v14
	v_ashrrev_i32_e32 v14, 31, v14
	v_and_b32_e32 v15, v15, v25
	v_xor_b32_e32 v25, vcc_hi, v14
	v_xor_b32_e32 v14, vcc_lo, v14
	v_and_b32_e32 v22, v22, v14
	v_lshlrev_b32_e32 v14, 24, v23
	v_cmp_gt_i64_e32 vcc, 0, v[13:14]
	v_not_b32_e32 v14, v14
	v_ashrrev_i32_e32 v14, 31, v14
	v_xor_b32_e32 v23, vcc_hi, v14
	v_xor_b32_e32 v14, vcc_lo, v14
	v_and_b32_e32 v15, v15, v25
	v_and_b32_e32 v14, v22, v14
	;; [unrolled: 1-line block ×3, first 2 shown]
	v_mbcnt_lo_u32_b32 v22, v14, 0
	v_mbcnt_hi_u32_b32 v22, v15, v22
	v_cmp_ne_u64_e32 vcc, 0, v[14:15]
	v_cmp_eq_u32_e64 s[0:1], 0, v22
	s_and_b64 s[2:3], vcc, s[0:1]
	v_add_u32_e32 v24, v16, v24
	s_and_saveexec_b64 s[0:1], s[2:3]
; %bb.98:
	v_bcnt_u32_b32 v14, v14, 0
	v_bcnt_u32_b32 v14, v15, v14
	ds_write_b32 v24, v14 offset:32
; %bb.99:
	s_or_b64 exec, exec, s[0:1]
	v_lshrrev_b64 v[14:15], s48, v[11:12]
	v_and_b32_e32 v15, s14, v14
	v_mul_lo_u32 v14, v15, 36
	v_and_b32_e32 v26, 1, v15
	; wave barrier
	v_add_u32_e32 v25, v16, v14
	v_add_co_u32_e32 v14, vcc, -1, v26
	v_addc_co_u32_e64 v27, s[0:1], 0, -1, vcc
	v_cmp_ne_u32_e32 vcc, 0, v26
	v_xor_b32_e32 v14, vcc_lo, v14
	v_xor_b32_e32 v26, vcc_hi, v27
	v_and_b32_e32 v27, exec_lo, v14
	v_lshlrev_b32_e32 v14, 30, v15
	v_cmp_gt_i64_e32 vcc, 0, v[13:14]
	v_not_b32_e32 v14, v14
	v_ashrrev_i32_e32 v14, 31, v14
	v_xor_b32_e32 v28, vcc_hi, v14
	v_xor_b32_e32 v14, vcc_lo, v14
	v_and_b32_e32 v27, v27, v14
	v_lshlrev_b32_e32 v14, 29, v15
	v_cmp_gt_i64_e32 vcc, 0, v[13:14]
	v_not_b32_e32 v14, v14
	v_and_b32_e32 v26, exec_hi, v26
	v_ashrrev_i32_e32 v14, 31, v14
	v_and_b32_e32 v26, v26, v28
	v_xor_b32_e32 v28, vcc_hi, v14
	v_xor_b32_e32 v14, vcc_lo, v14
	v_and_b32_e32 v27, v27, v14
	v_lshlrev_b32_e32 v14, 28, v15
	v_cmp_gt_i64_e32 vcc, 0, v[13:14]
	v_not_b32_e32 v14, v14
	v_ashrrev_i32_e32 v14, 31, v14
	v_and_b32_e32 v26, v26, v28
	v_xor_b32_e32 v28, vcc_hi, v14
	v_xor_b32_e32 v14, vcc_lo, v14
	v_and_b32_e32 v27, v27, v14
	v_lshlrev_b32_e32 v14, 27, v15
	v_cmp_gt_i64_e32 vcc, 0, v[13:14]
	v_not_b32_e32 v14, v14
	;; [unrolled: 8-line block ×5, first 2 shown]
	v_ashrrev_i32_e32 v13, 31, v13
	v_xor_b32_e32 v14, vcc_hi, v13
	v_xor_b32_e32 v13, vcc_lo, v13
	ds_read_b32 v23, v25 offset:32
	v_and_b32_e32 v26, v26, v28
	v_and_b32_e32 v13, v27, v13
	;; [unrolled: 1-line block ×3, first 2 shown]
	v_mbcnt_lo_u32_b32 v15, v13, 0
	v_mbcnt_hi_u32_b32 v26, v14, v15
	v_cmp_ne_u64_e32 vcc, 0, v[13:14]
	v_cmp_eq_u32_e64 s[0:1], 0, v26
	s_and_b64 s[2:3], vcc, s[0:1]
	; wave barrier
	s_and_saveexec_b64 s[0:1], s[2:3]
	s_cbranch_execz .LBB25_101
; %bb.100:
	v_bcnt_u32_b32 v13, v13, 0
	v_bcnt_u32_b32 v13, v14, v13
	s_waitcnt lgkmcnt(0)
	v_add_u32_e32 v13, v23, v13
	ds_write_b32 v25, v13 offset:32
.LBB25_101:
	s_or_b64 exec, exec, s[0:1]
	v_lshrrev_b64 v[13:14], s48, v[9:10]
	v_and_b32_e32 v15, s14, v13
	v_mul_lo_u32 v14, v15, 36
	v_and_b32_e32 v29, 1, v15
	v_mov_b32_e32 v13, 0
	; wave barrier
	v_add_u32_e32 v28, v16, v14
	v_add_co_u32_e32 v14, vcc, -1, v29
	v_addc_co_u32_e64 v30, s[0:1], 0, -1, vcc
	v_cmp_ne_u32_e32 vcc, 0, v29
	v_xor_b32_e32 v14, vcc_lo, v14
	v_xor_b32_e32 v29, vcc_hi, v30
	v_and_b32_e32 v30, exec_lo, v14
	v_lshlrev_b32_e32 v14, 30, v15
	v_cmp_gt_i64_e32 vcc, 0, v[13:14]
	v_not_b32_e32 v14, v14
	v_ashrrev_i32_e32 v14, 31, v14
	v_xor_b32_e32 v31, vcc_hi, v14
	v_xor_b32_e32 v14, vcc_lo, v14
	v_and_b32_e32 v30, v30, v14
	v_lshlrev_b32_e32 v14, 29, v15
	v_cmp_gt_i64_e32 vcc, 0, v[13:14]
	v_not_b32_e32 v14, v14
	v_and_b32_e32 v29, exec_hi, v29
	v_ashrrev_i32_e32 v14, 31, v14
	v_and_b32_e32 v29, v29, v31
	v_xor_b32_e32 v31, vcc_hi, v14
	v_xor_b32_e32 v14, vcc_lo, v14
	v_and_b32_e32 v30, v30, v14
	v_lshlrev_b32_e32 v14, 28, v15
	v_cmp_gt_i64_e32 vcc, 0, v[13:14]
	v_not_b32_e32 v14, v14
	v_ashrrev_i32_e32 v14, 31, v14
	v_and_b32_e32 v29, v29, v31
	v_xor_b32_e32 v31, vcc_hi, v14
	v_xor_b32_e32 v14, vcc_lo, v14
	v_and_b32_e32 v30, v30, v14
	v_lshlrev_b32_e32 v14, 27, v15
	v_cmp_gt_i64_e32 vcc, 0, v[13:14]
	v_not_b32_e32 v14, v14
	;; [unrolled: 8-line block ×5, first 2 shown]
	v_ashrrev_i32_e32 v14, 31, v14
	v_xor_b32_e32 v15, vcc_hi, v14
	v_xor_b32_e32 v14, vcc_lo, v14
	ds_read_b32 v27, v28 offset:32
	v_and_b32_e32 v29, v29, v31
	v_and_b32_e32 v14, v30, v14
	;; [unrolled: 1-line block ×3, first 2 shown]
	v_mbcnt_lo_u32_b32 v29, v14, 0
	v_mbcnt_hi_u32_b32 v29, v15, v29
	v_cmp_ne_u64_e32 vcc, 0, v[14:15]
	v_cmp_eq_u32_e64 s[0:1], 0, v29
	s_and_b64 s[2:3], vcc, s[0:1]
	; wave barrier
	s_and_saveexec_b64 s[0:1], s[2:3]
	s_cbranch_execz .LBB25_103
; %bb.102:
	v_bcnt_u32_b32 v14, v14, 0
	v_bcnt_u32_b32 v14, v15, v14
	s_waitcnt lgkmcnt(0)
	v_add_u32_e32 v14, v27, v14
	ds_write_b32 v28, v14 offset:32
.LBB25_103:
	s_or_b64 exec, exec, s[0:1]
	v_lshrrev_b64 v[14:15], s48, v[7:8]
	v_and_b32_e32 v15, s14, v14
	v_mul_lo_u32 v14, v15, 36
	v_and_b32_e32 v32, 1, v15
	; wave barrier
	v_add_u32_e32 v31, v16, v14
	v_add_co_u32_e32 v14, vcc, -1, v32
	v_addc_co_u32_e64 v33, s[0:1], 0, -1, vcc
	v_cmp_ne_u32_e32 vcc, 0, v32
	v_xor_b32_e32 v14, vcc_lo, v14
	v_xor_b32_e32 v32, vcc_hi, v33
	v_and_b32_e32 v33, exec_lo, v14
	v_lshlrev_b32_e32 v14, 30, v15
	v_cmp_gt_i64_e32 vcc, 0, v[13:14]
	v_not_b32_e32 v14, v14
	v_ashrrev_i32_e32 v14, 31, v14
	v_xor_b32_e32 v34, vcc_hi, v14
	v_xor_b32_e32 v14, vcc_lo, v14
	v_and_b32_e32 v33, v33, v14
	v_lshlrev_b32_e32 v14, 29, v15
	v_cmp_gt_i64_e32 vcc, 0, v[13:14]
	v_not_b32_e32 v14, v14
	v_and_b32_e32 v32, exec_hi, v32
	v_ashrrev_i32_e32 v14, 31, v14
	v_and_b32_e32 v32, v32, v34
	v_xor_b32_e32 v34, vcc_hi, v14
	v_xor_b32_e32 v14, vcc_lo, v14
	v_and_b32_e32 v33, v33, v14
	v_lshlrev_b32_e32 v14, 28, v15
	v_cmp_gt_i64_e32 vcc, 0, v[13:14]
	v_not_b32_e32 v14, v14
	v_ashrrev_i32_e32 v14, 31, v14
	v_and_b32_e32 v32, v32, v34
	v_xor_b32_e32 v34, vcc_hi, v14
	v_xor_b32_e32 v14, vcc_lo, v14
	v_and_b32_e32 v33, v33, v14
	v_lshlrev_b32_e32 v14, 27, v15
	v_cmp_gt_i64_e32 vcc, 0, v[13:14]
	v_not_b32_e32 v14, v14
	;; [unrolled: 8-line block ×5, first 2 shown]
	v_ashrrev_i32_e32 v13, 31, v13
	v_xor_b32_e32 v14, vcc_hi, v13
	v_xor_b32_e32 v13, vcc_lo, v13
	ds_read_b32 v30, v31 offset:32
	v_and_b32_e32 v32, v32, v34
	v_and_b32_e32 v13, v33, v13
	;; [unrolled: 1-line block ×3, first 2 shown]
	v_mbcnt_lo_u32_b32 v15, v13, 0
	v_mbcnt_hi_u32_b32 v32, v14, v15
	v_cmp_ne_u64_e32 vcc, 0, v[13:14]
	v_cmp_eq_u32_e64 s[0:1], 0, v32
	s_and_b64 s[2:3], vcc, s[0:1]
	; wave barrier
	s_and_saveexec_b64 s[0:1], s[2:3]
	s_cbranch_execz .LBB25_105
; %bb.104:
	v_bcnt_u32_b32 v13, v13, 0
	v_bcnt_u32_b32 v13, v14, v13
	s_waitcnt lgkmcnt(0)
	v_add_u32_e32 v13, v30, v13
	ds_write_b32 v31, v13 offset:32
.LBB25_105:
	s_or_b64 exec, exec, s[0:1]
	v_lshrrev_b64 v[13:14], s48, v[5:6]
	v_and_b32_e32 v15, s14, v13
	v_mul_lo_u32 v14, v15, 36
	v_and_b32_e32 v35, 1, v15
	v_mov_b32_e32 v13, 0
	; wave barrier
	v_add_u32_e32 v34, v16, v14
	v_add_co_u32_e32 v14, vcc, -1, v35
	v_addc_co_u32_e64 v36, s[0:1], 0, -1, vcc
	v_cmp_ne_u32_e32 vcc, 0, v35
	v_xor_b32_e32 v14, vcc_lo, v14
	v_xor_b32_e32 v35, vcc_hi, v36
	v_and_b32_e32 v36, exec_lo, v14
	v_lshlrev_b32_e32 v14, 30, v15
	v_cmp_gt_i64_e32 vcc, 0, v[13:14]
	v_not_b32_e32 v14, v14
	v_ashrrev_i32_e32 v14, 31, v14
	v_xor_b32_e32 v37, vcc_hi, v14
	v_xor_b32_e32 v14, vcc_lo, v14
	v_and_b32_e32 v36, v36, v14
	v_lshlrev_b32_e32 v14, 29, v15
	v_cmp_gt_i64_e32 vcc, 0, v[13:14]
	v_not_b32_e32 v14, v14
	v_and_b32_e32 v35, exec_hi, v35
	v_ashrrev_i32_e32 v14, 31, v14
	v_and_b32_e32 v35, v35, v37
	v_xor_b32_e32 v37, vcc_hi, v14
	v_xor_b32_e32 v14, vcc_lo, v14
	v_and_b32_e32 v36, v36, v14
	v_lshlrev_b32_e32 v14, 28, v15
	v_cmp_gt_i64_e32 vcc, 0, v[13:14]
	v_not_b32_e32 v14, v14
	v_ashrrev_i32_e32 v14, 31, v14
	v_and_b32_e32 v35, v35, v37
	v_xor_b32_e32 v37, vcc_hi, v14
	v_xor_b32_e32 v14, vcc_lo, v14
	v_and_b32_e32 v36, v36, v14
	v_lshlrev_b32_e32 v14, 27, v15
	v_cmp_gt_i64_e32 vcc, 0, v[13:14]
	v_not_b32_e32 v14, v14
	;; [unrolled: 8-line block ×5, first 2 shown]
	v_ashrrev_i32_e32 v14, 31, v14
	v_xor_b32_e32 v15, vcc_hi, v14
	v_xor_b32_e32 v14, vcc_lo, v14
	ds_read_b32 v33, v34 offset:32
	v_and_b32_e32 v35, v35, v37
	v_and_b32_e32 v14, v36, v14
	v_and_b32_e32 v15, v35, v15
	v_mbcnt_lo_u32_b32 v35, v14, 0
	v_mbcnt_hi_u32_b32 v35, v15, v35
	v_cmp_ne_u64_e32 vcc, 0, v[14:15]
	v_cmp_eq_u32_e64 s[0:1], 0, v35
	s_and_b64 s[2:3], vcc, s[0:1]
	; wave barrier
	s_and_saveexec_b64 s[0:1], s[2:3]
	s_cbranch_execz .LBB25_107
; %bb.106:
	v_bcnt_u32_b32 v14, v14, 0
	v_bcnt_u32_b32 v14, v15, v14
	s_waitcnt lgkmcnt(0)
	v_add_u32_e32 v14, v33, v14
	ds_write_b32 v34, v14 offset:32
.LBB25_107:
	s_or_b64 exec, exec, s[0:1]
	v_lshrrev_b64 v[14:15], s48, v[1:2]
	v_and_b32_e32 v15, s14, v14
	v_mul_lo_u32 v14, v15, 36
	v_and_b32_e32 v38, 1, v15
	; wave barrier
	v_add_u32_e32 v37, v16, v14
	v_add_co_u32_e32 v14, vcc, -1, v38
	v_addc_co_u32_e64 v16, s[0:1], 0, -1, vcc
	v_cmp_ne_u32_e32 vcc, 0, v38
	v_xor_b32_e32 v14, vcc_lo, v14
	v_and_b32_e32 v38, exec_lo, v14
	v_lshlrev_b32_e32 v14, 30, v15
	v_xor_b32_e32 v16, vcc_hi, v16
	v_cmp_gt_i64_e32 vcc, 0, v[13:14]
	v_not_b32_e32 v14, v14
	v_ashrrev_i32_e32 v14, 31, v14
	v_xor_b32_e32 v39, vcc_hi, v14
	v_xor_b32_e32 v14, vcc_lo, v14
	v_and_b32_e32 v38, v38, v14
	v_lshlrev_b32_e32 v14, 29, v15
	v_cmp_gt_i64_e32 vcc, 0, v[13:14]
	v_not_b32_e32 v14, v14
	v_and_b32_e32 v16, exec_hi, v16
	v_ashrrev_i32_e32 v14, 31, v14
	v_and_b32_e32 v16, v16, v39
	v_xor_b32_e32 v39, vcc_hi, v14
	v_xor_b32_e32 v14, vcc_lo, v14
	v_and_b32_e32 v38, v38, v14
	v_lshlrev_b32_e32 v14, 28, v15
	v_cmp_gt_i64_e32 vcc, 0, v[13:14]
	v_not_b32_e32 v14, v14
	v_ashrrev_i32_e32 v14, 31, v14
	v_and_b32_e32 v16, v16, v39
	v_xor_b32_e32 v39, vcc_hi, v14
	v_xor_b32_e32 v14, vcc_lo, v14
	v_and_b32_e32 v38, v38, v14
	v_lshlrev_b32_e32 v14, 27, v15
	v_cmp_gt_i64_e32 vcc, 0, v[13:14]
	v_not_b32_e32 v14, v14
	v_ashrrev_i32_e32 v14, 31, v14
	v_and_b32_e32 v16, v16, v39
	v_xor_b32_e32 v39, vcc_hi, v14
	v_xor_b32_e32 v14, vcc_lo, v14
	v_and_b32_e32 v38, v38, v14
	v_lshlrev_b32_e32 v14, 26, v15
	v_cmp_gt_i64_e32 vcc, 0, v[13:14]
	v_not_b32_e32 v14, v14
	v_ashrrev_i32_e32 v14, 31, v14
	v_and_b32_e32 v16, v16, v39
	v_xor_b32_e32 v39, vcc_hi, v14
	v_xor_b32_e32 v14, vcc_lo, v14
	v_and_b32_e32 v38, v38, v14
	v_lshlrev_b32_e32 v14, 25, v15
	v_cmp_gt_i64_e32 vcc, 0, v[13:14]
	v_not_b32_e32 v14, v14
	v_ashrrev_i32_e32 v14, 31, v14
	v_and_b32_e32 v16, v16, v39
	v_xor_b32_e32 v39, vcc_hi, v14
	v_xor_b32_e32 v14, vcc_lo, v14
	v_and_b32_e32 v38, v38, v14
	v_lshlrev_b32_e32 v14, 24, v15
	v_cmp_gt_i64_e32 vcc, 0, v[13:14]
	v_not_b32_e32 v13, v14
	v_ashrrev_i32_e32 v13, 31, v13
	v_xor_b32_e32 v14, vcc_hi, v13
	v_xor_b32_e32 v13, vcc_lo, v13
	ds_read_b32 v36, v37 offset:32
	v_and_b32_e32 v16, v16, v39
	v_and_b32_e32 v13, v38, v13
	;; [unrolled: 1-line block ×3, first 2 shown]
	v_mbcnt_lo_u32_b32 v15, v13, 0
	v_mbcnt_hi_u32_b32 v38, v14, v15
	v_cmp_ne_u64_e32 vcc, 0, v[13:14]
	v_cmp_eq_u32_e64 s[0:1], 0, v38
	s_and_b64 s[2:3], vcc, s[0:1]
	; wave barrier
	s_and_saveexec_b64 s[0:1], s[2:3]
	s_cbranch_execz .LBB25_109
; %bb.108:
	v_bcnt_u32_b32 v13, v13, 0
	v_bcnt_u32_b32 v13, v14, v13
	s_waitcnt lgkmcnt(0)
	v_add_u32_e32 v13, v36, v13
	ds_write_b32 v37, v13 offset:32
.LBB25_109:
	s_or_b64 exec, exec, s[0:1]
	; wave barrier
	s_waitcnt lgkmcnt(0)
	s_barrier
	ds_read2_b32 v[15:16], v20 offset0:8 offset1:9
	ds_read2_b32 v[13:14], v20 offset0:10 offset1:11
	ds_read_b32 v39, v20 offset:48
	v_min_u32_e32 v21, 0x1c0, v21
	v_or_b32_e32 v21, 63, v21
	s_waitcnt lgkmcnt(1)
	v_add3_u32 v40, v16, v15, v13
	s_waitcnt lgkmcnt(0)
	v_add3_u32 v39, v40, v14, v39
	v_and_b32_e32 v40, 15, v19
	v_cmp_ne_u32_e32 vcc, 0, v40
	v_mov_b32_dpp v41, v39 row_shr:1 row_mask:0xf bank_mask:0xf
	v_cndmask_b32_e32 v41, 0, v41, vcc
	v_add_u32_e32 v39, v41, v39
	v_cmp_lt_u32_e32 vcc, 1, v40
	s_nop 0
	v_mov_b32_dpp v41, v39 row_shr:2 row_mask:0xf bank_mask:0xf
	v_cndmask_b32_e32 v41, 0, v41, vcc
	v_add_u32_e32 v39, v39, v41
	v_cmp_lt_u32_e32 vcc, 3, v40
	s_nop 0
	;; [unrolled: 5-line block ×3, first 2 shown]
	v_mov_b32_dpp v41, v39 row_shr:8 row_mask:0xf bank_mask:0xf
	v_cndmask_b32_e32 v40, 0, v41, vcc
	v_add_u32_e32 v39, v39, v40
	v_bfe_i32 v41, v19, 4, 1
	v_cmp_lt_u32_e32 vcc, 31, v19
	v_mov_b32_dpp v40, v39 row_bcast:15 row_mask:0xf bank_mask:0xf
	v_and_b32_e32 v40, v41, v40
	v_add_u32_e32 v39, v39, v40
	s_nop 1
	v_mov_b32_dpp v40, v39 row_bcast:31 row_mask:0xf bank_mask:0xf
	v_cndmask_b32_e32 v40, 0, v40, vcc
	v_add_u32_e32 v39, v39, v40
	v_lshrrev_b32_e32 v40, 6, v0
	v_cmp_eq_u32_e32 vcc, v0, v21
	s_and_saveexec_b64 s[0:1], vcc
; %bb.110:
	v_lshlrev_b32_e32 v21, 2, v40
	ds_write_b32 v21, v39
; %bb.111:
	s_or_b64 exec, exec, s[0:1]
	v_cmp_gt_u32_e32 vcc, 8, v0
	s_waitcnt lgkmcnt(0)
	s_barrier
	s_and_saveexec_b64 s[0:1], vcc
	s_cbranch_execz .LBB25_113
; %bb.112:
	v_lshlrev_b32_e32 v21, 2, v0
	ds_read_b32 v41, v21
	v_and_b32_e32 v42, 7, v19
	v_cmp_ne_u32_e32 vcc, 0, v42
	s_waitcnt lgkmcnt(0)
	v_mov_b32_dpp v43, v41 row_shr:1 row_mask:0xf bank_mask:0xf
	v_cndmask_b32_e32 v43, 0, v43, vcc
	v_add_u32_e32 v41, v43, v41
	v_cmp_lt_u32_e32 vcc, 1, v42
	s_nop 0
	v_mov_b32_dpp v43, v41 row_shr:2 row_mask:0xf bank_mask:0xf
	v_cndmask_b32_e32 v43, 0, v43, vcc
	v_add_u32_e32 v41, v41, v43
	v_cmp_lt_u32_e32 vcc, 3, v42
	s_nop 0
	v_mov_b32_dpp v43, v41 row_shr:4 row_mask:0xf bank_mask:0xf
	v_cndmask_b32_e32 v42, 0, v43, vcc
	v_add_u32_e32 v41, v41, v42
	ds_write_b32 v21, v41
.LBB25_113:
	s_or_b64 exec, exec, s[0:1]
	v_cmp_lt_u32_e32 vcc, 63, v0
	v_mov_b32_e32 v21, 0
	s_waitcnt lgkmcnt(0)
	s_barrier
	s_and_saveexec_b64 s[0:1], vcc
; %bb.114:
	v_lshl_add_u32 v21, v40, 2, -4
	ds_read_b32 v21, v21
; %bb.115:
	s_or_b64 exec, exec, s[0:1]
	v_add_u32_e32 v40, -1, v19
	v_and_b32_e32 v41, 64, v19
	v_cmp_lt_i32_e32 vcc, v40, v41
	v_cndmask_b32_e32 v40, v40, v19, vcc
	s_waitcnt lgkmcnt(0)
	v_add_u32_e32 v39, v21, v39
	v_lshlrev_b32_e32 v40, 2, v40
	ds_bpermute_b32 v39, v40, v39
	v_cmp_eq_u32_e32 vcc, 0, v19
	s_movk_i32 s0, 0xff
	s_movk_i32 s2, 0x100
	s_waitcnt lgkmcnt(0)
	v_cndmask_b32_e32 v19, v39, v21, vcc
	v_cmp_ne_u32_e32 vcc, 0, v0
	v_cndmask_b32_e32 v19, 0, v19, vcc
	v_add_u32_e32 v15, v19, v15
	v_add_u32_e32 v16, v15, v16
	;; [unrolled: 1-line block ×4, first 2 shown]
	ds_write2_b32 v20, v19, v15 offset0:8 offset1:9
	ds_write2_b32 v20, v16, v13 offset0:10 offset1:11
	ds_write_b32 v20, v14 offset:48
	s_waitcnt lgkmcnt(0)
	s_barrier
	ds_read_b32 v16, v24 offset:32
	ds_read_b32 v19, v25 offset:32
	;; [unrolled: 1-line block ×6, first 2 shown]
	v_mov_b32_e32 v13, 0
	v_cmp_lt_u32_e32 vcc, s0, v0
	v_mov_b32_e32 v14, 0
	v_cmp_gt_u32_e64 s[0:1], s2, v0
                                        ; implicit-def: $vgpr15
	s_and_saveexec_b64 s[4:5], s[0:1]
	s_cbranch_execz .LBB25_119
; %bb.116:
	v_mul_u32_u24_e32 v13, 36, v0
	ds_read_b32 v13, v13 offset:32
	v_add_u32_e32 v15, 1, v0
	v_cmp_ne_u32_e64 s[2:3], s2, v15
	v_mov_b32_e32 v14, 0xc00
	s_and_saveexec_b64 s[10:11], s[2:3]
; %bb.117:
	v_mul_u32_u24_e32 v14, 36, v15
	ds_read_b32 v14, v14 offset:32
; %bb.118:
	s_or_b64 exec, exec, s[10:11]
	s_waitcnt lgkmcnt(0)
	v_sub_u32_e32 v15, v14, v13
	v_mov_b32_e32 v14, 0
.LBB25_119:
	s_or_b64 exec, exec, s[4:5]
	v_lshlrev_b32_e32 v22, 3, v22
	s_waitcnt lgkmcnt(5)
	v_lshl_add_u32 v16, v16, 3, v22
	s_waitcnt lgkmcnt(0)
	s_barrier
	ds_write_b64 v16, v[3:4] offset:2048
	v_lshlrev_b32_e32 v3, 3, v26
	v_lshlrev_b32_e32 v4, 3, v23
	v_lshlrev_b32_e32 v19, 3, v19
	v_add3_u32 v19, v3, v4, v19
	ds_write_b64 v19, v[11:12] offset:2048
	v_lshlrev_b32_e32 v3, 3, v29
	v_lshlrev_b32_e32 v4, 3, v27
	v_lshlrev_b32_e32 v11, 3, v25
	v_add3_u32 v11, v3, v4, v11
	;; [unrolled: 5-line block ×5, first 2 shown]
	ds_write_b64 v10, v[1:2] offset:2048
	v_mov_b32_e32 v2, 0
	v_lshlrev_b32_e32 v7, 3, v0
	s_waitcnt lgkmcnt(0)
	s_barrier
	s_and_saveexec_b64 s[2:3], s[0:1]
	s_cbranch_execz .LBB25_129
; %bb.120:
	v_lshl_add_u32 v1, s6, 8, v0
	v_lshlrev_b64 v[3:4], 2, v[1:2]
	v_mov_b32_e32 v12, s31
	v_add_co_u32_e64 v3, s[0:1], s30, v3
	v_addc_co_u32_e64 v4, s[0:1], v12, v4, s[0:1]
	v_or_b32_e32 v1, 2.0, v15
	s_mov_b64 s[4:5], 0
	s_brev_b32 s15, -4
	s_mov_b32 s16, s6
	v_mov_b32_e32 v20, 0
	global_store_dword v[3:4], v1, off
                                        ; implicit-def: $sgpr0_sgpr1
	s_branch .LBB25_123
.LBB25_121:                             ;   in Loop: Header=BB25_123 Depth=1
	s_or_b64 exec, exec, s[12:13]
.LBB25_122:                             ;   in Loop: Header=BB25_123 Depth=1
	s_or_b64 exec, exec, s[10:11]
	v_and_b32_e32 v5, 0x3fffffff, v1
	v_add_u32_e32 v20, v5, v20
	v_cmp_gt_i32_e64 s[0:1], -2.0, v1
	s_and_b64 s[10:11], exec, s[0:1]
	s_or_b64 s[4:5], s[10:11], s[4:5]
	s_andn2_b64 exec, exec, s[4:5]
	s_cbranch_execz .LBB25_128
.LBB25_123:                             ; =>This Loop Header: Depth=1
                                        ;     Child Loop BB25_126 Depth 2
	s_or_b64 s[0:1], s[0:1], exec
	s_cmp_eq_u32 s16, 0
	s_cbranch_scc1 .LBB25_127
; %bb.124:                              ;   in Loop: Header=BB25_123 Depth=1
	s_add_i32 s16, s16, -1
	v_lshl_or_b32 v1, s16, 8, v0
	v_lshlrev_b64 v[5:6], 2, v[1:2]
	v_add_co_u32_e64 v5, s[0:1], s30, v5
	v_addc_co_u32_e64 v6, s[0:1], v12, v6, s[0:1]
	global_load_dword v1, v[5:6], off glc
	s_waitcnt vmcnt(0)
	v_cmp_gt_u32_e64 s[0:1], 2.0, v1
	s_and_saveexec_b64 s[10:11], s[0:1]
	s_cbranch_execz .LBB25_122
; %bb.125:                              ;   in Loop: Header=BB25_123 Depth=1
	s_mov_b64 s[12:13], 0
.LBB25_126:                             ;   Parent Loop BB25_123 Depth=1
                                        ; =>  This Inner Loop Header: Depth=2
	global_load_dword v1, v[5:6], off glc
	s_waitcnt vmcnt(0)
	v_cmp_lt_u32_e64 s[0:1], s15, v1
	s_or_b64 s[12:13], s[0:1], s[12:13]
	s_andn2_b64 exec, exec, s[12:13]
	s_cbranch_execnz .LBB25_126
	s_branch .LBB25_121
.LBB25_127:                             ;   in Loop: Header=BB25_123 Depth=1
                                        ; implicit-def: $sgpr16
	s_and_b64 s[10:11], exec, s[0:1]
	s_or_b64 s[4:5], s[10:11], s[4:5]
	s_andn2_b64 exec, exec, s[4:5]
	s_cbranch_execnz .LBB25_123
.LBB25_128:
	s_or_b64 exec, exec, s[4:5]
	v_add_u32_e32 v0, v20, v15
	v_or_b32_e32 v0, 0x80000000, v0
	global_store_dword v[3:4], v0, off
	global_load_dwordx2 v[0:1], v7, s[44:45]
	v_sub_co_u32_e64 v2, s[0:1], v20, v13
	v_subb_co_u32_e64 v3, s[0:1], 0, v14, s[0:1]
	s_waitcnt vmcnt(0)
	v_add_co_u32_e64 v0, s[0:1], v2, v0
	v_addc_co_u32_e64 v1, s[0:1], v3, v1, s[0:1]
	ds_write_b64 v7, v[0:1]
.LBB25_129:
	s_or_b64 exec, exec, s[2:3]
	s_waitcnt lgkmcnt(0)
	s_barrier
	ds_read2st64_b64 v[0:3], v7 offset0:4 offset1:12
	ds_read2st64_b64 v[20:23], v7 offset0:20 offset1:28
	v_or_b32_e32 v33, 0x1000, v7
	v_or_b32_e32 v34, 0x5000, v7
	s_waitcnt lgkmcnt(1)
	v_lshrrev_b64 v[4:5], s48, v[0:1]
	v_lshrrev_b64 v[5:6], s48, v[2:3]
	v_and_b32_e32 v4, s14, v4
	v_lshlrev_b32_e32 v12, 3, v4
	ds_read_b64 v[24:25], v12
	v_and_b32_e32 v6, s14, v5
	s_waitcnt lgkmcnt(1)
	v_lshrrev_b64 v[4:5], s48, v[20:21]
	v_lshlrev_b32_e32 v30, 3, v6
	v_and_b32_e32 v6, s14, v4
	v_lshrrev_b64 v[4:5], s48, v[22:23]
	s_waitcnt lgkmcnt(0)
	v_lshlrev_b64 v[24:25], 3, v[24:25]
	v_lshlrev_b32_e32 v31, 3, v6
	v_and_b32_e32 v4, s14, v4
	v_mov_b32_e32 v6, s39
	v_add_co_u32_e64 v24, s[0:1], s38, v24
	v_lshlrev_b32_e32 v32, 3, v4
	ds_read_b64 v[4:5], v30
	ds_read_b64 v[26:27], v31
	;; [unrolled: 1-line block ×3, first 2 shown]
	v_addc_co_u32_e64 v6, s[0:1], v6, v25, s[0:1]
	v_add_co_u32_e64 v24, s[0:1], v24, v7
	v_addc_co_u32_e64 v25, s[0:1], 0, v6, s[0:1]
	global_store_dwordx2 v[24:25], v[0:1], off
	s_waitcnt lgkmcnt(2)
	v_lshlrev_b64 v[0:1], 3, v[4:5]
	v_mov_b32_e32 v4, s39
	v_add_co_u32_e64 v0, s[0:1], s38, v0
	v_addc_co_u32_e64 v1, s[0:1], v4, v1, s[0:1]
	v_add_co_u32_e64 v0, s[0:1], v0, v33
	v_addc_co_u32_e64 v1, s[0:1], 0, v1, s[0:1]
	global_store_dwordx2 v[0:1], v[2:3], off
	s_waitcnt lgkmcnt(1)
	v_lshlrev_b64 v[0:1], 3, v[26:27]
	v_mov_b32_e32 v2, s39
	v_add_co_u32_e64 v0, s[0:1], s38, v0
	v_addc_co_u32_e64 v1, s[0:1], v2, v1, s[0:1]
	v_or_b32_e32 v26, 0x2000, v7
	v_add_co_u32_e64 v0, s[0:1], v0, v26
	v_addc_co_u32_e64 v1, s[0:1], 0, v1, s[0:1]
	global_store_dwordx2 v[0:1], v[20:21], off
	ds_read2st64_b64 v[0:3], v7 offset0:36 offset1:44
	s_waitcnt lgkmcnt(1)
	v_lshlrev_b64 v[4:5], 3, v[28:29]
	v_mov_b32_e32 v6, s39
	v_add_co_u32_e64 v20, s[0:1], s38, v4
	v_addc_co_u32_e64 v6, s[0:1], v6, v5, s[0:1]
	s_waitcnt lgkmcnt(0)
	v_lshrrev_b64 v[4:5], s48, v[0:1]
	v_or_b32_e32 v27, 0x3000, v7
	v_and_b32_e32 v4, s14, v4
	v_lshlrev_b32_e32 v28, 3, v4
	v_add_co_u32_e64 v5, s[0:1], v20, v27
	ds_read_b64 v[20:21], v28
	v_lshrrev_b64 v[24:25], s48, v[2:3]
	v_addc_co_u32_e64 v6, s[0:1], 0, v6, s[0:1]
	v_and_b32_e32 v4, s14, v24
	global_store_dwordx2 v[5:6], v[22:23], off
	v_lshlrev_b32_e32 v6, 3, v4
	ds_read_b64 v[4:5], v6
	s_waitcnt lgkmcnt(1)
	v_lshlrev_b64 v[20:21], 3, v[20:21]
	v_mov_b32_e32 v22, s39
	v_add_co_u32_e64 v20, s[0:1], s38, v20
	v_addc_co_u32_e64 v21, s[0:1], v22, v21, s[0:1]
	v_or_b32_e32 v29, 0x4000, v7
	v_add_co_u32_e64 v20, s[0:1], v20, v29
	v_addc_co_u32_e64 v21, s[0:1], 0, v21, s[0:1]
	global_store_dwordx2 v[20:21], v[0:1], off
	s_waitcnt lgkmcnt(0)
	v_lshlrev_b64 v[0:1], 3, v[4:5]
	v_mov_b32_e32 v4, s39
	v_add_co_u32_e64 v0, s[0:1], s38, v0
	v_addc_co_u32_e64 v1, s[0:1], v4, v1, s[0:1]
	v_add_co_u32_e64 v0, s[0:1], v0, v34
	v_addc_co_u32_e64 v1, s[0:1], 0, v1, s[0:1]
	s_add_u32 s0, s40, s8
	s_addc_u32 s1, s41, s9
	global_store_dwordx2 v[0:1], v[2:3], off
	v_mov_b32_e32 v0, s1
	v_add_co_u32_e64 v1, s[0:1], s0, v17
	v_addc_co_u32_e64 v2, s[0:1], 0, v0, s[0:1]
	v_add_co_u32_e64 v0, s[0:1], v1, v18
	v_addc_co_u32_e64 v1, s[0:1], 0, v2, s[0:1]
	global_load_dwordx2 v[2:3], v[0:1], off
	global_load_dwordx2 v[4:5], v[0:1], off offset:512
	global_load_dwordx2 v[17:18], v[0:1], off offset:1024
	;; [unrolled: 1-line block ×5, first 2 shown]
	s_waitcnt vmcnt(0)
	s_barrier
	s_add_i32 s7, s7, -1
	s_cmp_eq_u32 s6, s7
	ds_write_b64 v16, v[2:3] offset:2048
	ds_write_b64 v19, v[4:5] offset:2048
	;; [unrolled: 1-line block ×6, first 2 shown]
	s_waitcnt lgkmcnt(0)
	s_barrier
	ds_read_b64 v[4:5], v12
	ds_read2st64_b64 v[0:3], v7 offset0:4 offset1:12
	ds_read_b64 v[8:9], v30
	ds_read_b64 v[10:11], v31
	;; [unrolled: 1-line block ×3, first 2 shown]
	s_waitcnt lgkmcnt(4)
	v_lshlrev_b64 v[4:5], 3, v[4:5]
	v_mov_b32_e32 v12, s43
	v_add_co_u32_e64 v4, s[0:1], s42, v4
	v_addc_co_u32_e64 v5, s[0:1], v12, v5, s[0:1]
	v_add_co_u32_e64 v4, s[0:1], v4, v7
	v_addc_co_u32_e64 v5, s[0:1], 0, v5, s[0:1]
	s_waitcnt lgkmcnt(3)
	global_store_dwordx2 v[4:5], v[0:1], off
	s_waitcnt lgkmcnt(2)
	v_lshlrev_b64 v[0:1], 3, v[8:9]
	v_mov_b32_e32 v4, s43
	v_add_co_u32_e64 v0, s[0:1], s42, v0
	v_addc_co_u32_e64 v1, s[0:1], v4, v1, s[0:1]
	v_add_co_u32_e64 v0, s[0:1], v0, v33
	v_addc_co_u32_e64 v1, s[0:1], 0, v1, s[0:1]
	s_waitcnt lgkmcnt(1)
	v_lshlrev_b64 v[4:5], 3, v[10:11]
	global_store_dwordx2 v[0:1], v[2:3], off
	ds_read2st64_b64 v[0:3], v7 offset0:20 offset1:28
	v_mov_b32_e32 v8, s43
	v_add_co_u32_e64 v4, s[0:1], s42, v4
	v_addc_co_u32_e64 v5, s[0:1], v8, v5, s[0:1]
	v_add_co_u32_e64 v4, s[0:1], v4, v26
	v_addc_co_u32_e64 v5, s[0:1], 0, v5, s[0:1]
	s_waitcnt lgkmcnt(0)
	global_store_dwordx2 v[4:5], v[0:1], off
	v_lshlrev_b64 v[0:1], 3, v[16:17]
	v_mov_b32_e32 v4, s43
	v_add_co_u32_e64 v0, s[0:1], s42, v0
	v_addc_co_u32_e64 v1, s[0:1], v4, v1, s[0:1]
	ds_read_b64 v[4:5], v28
	v_add_co_u32_e64 v0, s[0:1], v0, v27
	v_addc_co_u32_e64 v1, s[0:1], 0, v1, s[0:1]
	global_store_dwordx2 v[0:1], v[2:3], off
	s_waitcnt lgkmcnt(0)
	v_lshlrev_b64 v[4:5], 3, v[4:5]
	ds_read2st64_b64 v[0:3], v7 offset0:36 offset1:44
	ds_read_b64 v[8:9], v6
	v_mov_b32_e32 v6, s43
	v_add_co_u32_e64 v4, s[0:1], s42, v4
	v_addc_co_u32_e64 v5, s[0:1], v6, v5, s[0:1]
	v_add_co_u32_e64 v4, s[0:1], v4, v29
	v_addc_co_u32_e64 v5, s[0:1], 0, v5, s[0:1]
	s_waitcnt lgkmcnt(1)
	global_store_dwordx2 v[4:5], v[0:1], off
	s_waitcnt lgkmcnt(0)
	v_lshlrev_b64 v[0:1], 3, v[8:9]
	v_mov_b32_e32 v4, s43
	v_add_co_u32_e64 v0, s[0:1], s42, v0
	v_addc_co_u32_e64 v1, s[0:1], v4, v1, s[0:1]
	v_add_co_u32_e64 v0, s[0:1], v0, v34
	v_addc_co_u32_e64 v1, s[0:1], 0, v1, s[0:1]
	s_cselect_b64 s[0:1], -1, 0
	s_xor_b64 s[2:3], vcc, -1
	s_and_b64 s[0:1], s[2:3], s[0:1]
	global_store_dwordx2 v[0:1], v[2:3], off
	s_and_saveexec_b64 s[2:3], s[0:1]
	s_cbranch_execz .LBB25_131
; %bb.130:
	ds_read_b64 v[0:1], v7
	v_add_co_u32_e32 v2, vcc, v13, v15
	v_addc_co_u32_e32 v3, vcc, 0, v14, vcc
	s_waitcnt lgkmcnt(0)
	v_add_co_u32_e32 v0, vcc, v2, v0
	v_addc_co_u32_e32 v1, vcc, v3, v1, vcc
	global_store_dwordx2 v7, v[0:1], s[46:47]
.LBB25_131:
	s_endpgm
	.section	.rodata,"a",@progbits
	.p2align	6, 0x0
	.amdhsa_kernel _ZN7rocprim17ROCPRIM_304000_NS6detail25onesweep_iteration_kernelINS1_34wrapped_radix_sort_onesweep_configINS0_14default_configEmN2at4cuda3cub6detail10OpaqueTypeILi8EEEEELb0EPmSC_PSA_SD_mNS0_19identity_decomposerEEEvT1_T2_T3_T4_jPT5_SK_PNS1_23onesweep_lookback_stateET6_jjj
		.amdhsa_group_segment_fixed_size 26624
		.amdhsa_private_segment_fixed_size 0
		.amdhsa_kernarg_size 336
		.amdhsa_user_sgpr_count 6
		.amdhsa_user_sgpr_private_segment_buffer 1
		.amdhsa_user_sgpr_dispatch_ptr 0
		.amdhsa_user_sgpr_queue_ptr 0
		.amdhsa_user_sgpr_kernarg_segment_ptr 1
		.amdhsa_user_sgpr_dispatch_id 0
		.amdhsa_user_sgpr_flat_scratch_init 0
		.amdhsa_user_sgpr_private_segment_size 0
		.amdhsa_uses_dynamic_stack 0
		.amdhsa_system_sgpr_private_segment_wavefront_offset 0
		.amdhsa_system_sgpr_workgroup_id_x 1
		.amdhsa_system_sgpr_workgroup_id_y 0
		.amdhsa_system_sgpr_workgroup_id_z 0
		.amdhsa_system_sgpr_workgroup_info 0
		.amdhsa_system_vgpr_workitem_id 2
		.amdhsa_next_free_vgpr 49
		.amdhsa_next_free_sgpr 98
		.amdhsa_reserve_vcc 1
		.amdhsa_reserve_flat_scratch 0
		.amdhsa_float_round_mode_32 0
		.amdhsa_float_round_mode_16_64 0
		.amdhsa_float_denorm_mode_32 3
		.amdhsa_float_denorm_mode_16_64 3
		.amdhsa_dx10_clamp 1
		.amdhsa_ieee_mode 1
		.amdhsa_fp16_overflow 0
		.amdhsa_exception_fp_ieee_invalid_op 0
		.amdhsa_exception_fp_denorm_src 0
		.amdhsa_exception_fp_ieee_div_zero 0
		.amdhsa_exception_fp_ieee_overflow 0
		.amdhsa_exception_fp_ieee_underflow 0
		.amdhsa_exception_fp_ieee_inexact 0
		.amdhsa_exception_int_div_zero 0
	.end_amdhsa_kernel
	.section	.text._ZN7rocprim17ROCPRIM_304000_NS6detail25onesweep_iteration_kernelINS1_34wrapped_radix_sort_onesweep_configINS0_14default_configEmN2at4cuda3cub6detail10OpaqueTypeILi8EEEEELb0EPmSC_PSA_SD_mNS0_19identity_decomposerEEEvT1_T2_T3_T4_jPT5_SK_PNS1_23onesweep_lookback_stateET6_jjj,"axG",@progbits,_ZN7rocprim17ROCPRIM_304000_NS6detail25onesweep_iteration_kernelINS1_34wrapped_radix_sort_onesweep_configINS0_14default_configEmN2at4cuda3cub6detail10OpaqueTypeILi8EEEEELb0EPmSC_PSA_SD_mNS0_19identity_decomposerEEEvT1_T2_T3_T4_jPT5_SK_PNS1_23onesweep_lookback_stateET6_jjj,comdat
.Lfunc_end25:
	.size	_ZN7rocprim17ROCPRIM_304000_NS6detail25onesweep_iteration_kernelINS1_34wrapped_radix_sort_onesweep_configINS0_14default_configEmN2at4cuda3cub6detail10OpaqueTypeILi8EEEEELb0EPmSC_PSA_SD_mNS0_19identity_decomposerEEEvT1_T2_T3_T4_jPT5_SK_PNS1_23onesweep_lookback_stateET6_jjj, .Lfunc_end25-_ZN7rocprim17ROCPRIM_304000_NS6detail25onesweep_iteration_kernelINS1_34wrapped_radix_sort_onesweep_configINS0_14default_configEmN2at4cuda3cub6detail10OpaqueTypeILi8EEEEELb0EPmSC_PSA_SD_mNS0_19identity_decomposerEEEvT1_T2_T3_T4_jPT5_SK_PNS1_23onesweep_lookback_stateET6_jjj
                                        ; -- End function
	.set _ZN7rocprim17ROCPRIM_304000_NS6detail25onesweep_iteration_kernelINS1_34wrapped_radix_sort_onesweep_configINS0_14default_configEmN2at4cuda3cub6detail10OpaqueTypeILi8EEEEELb0EPmSC_PSA_SD_mNS0_19identity_decomposerEEEvT1_T2_T3_T4_jPT5_SK_PNS1_23onesweep_lookback_stateET6_jjj.num_vgpr, 47
	.set _ZN7rocprim17ROCPRIM_304000_NS6detail25onesweep_iteration_kernelINS1_34wrapped_radix_sort_onesweep_configINS0_14default_configEmN2at4cuda3cub6detail10OpaqueTypeILi8EEEEELb0EPmSC_PSA_SD_mNS0_19identity_decomposerEEEvT1_T2_T3_T4_jPT5_SK_PNS1_23onesweep_lookback_stateET6_jjj.num_agpr, 0
	.set _ZN7rocprim17ROCPRIM_304000_NS6detail25onesweep_iteration_kernelINS1_34wrapped_radix_sort_onesweep_configINS0_14default_configEmN2at4cuda3cub6detail10OpaqueTypeILi8EEEEELb0EPmSC_PSA_SD_mNS0_19identity_decomposerEEEvT1_T2_T3_T4_jPT5_SK_PNS1_23onesweep_lookback_stateET6_jjj.numbered_sgpr, 54
	.set _ZN7rocprim17ROCPRIM_304000_NS6detail25onesweep_iteration_kernelINS1_34wrapped_radix_sort_onesweep_configINS0_14default_configEmN2at4cuda3cub6detail10OpaqueTypeILi8EEEEELb0EPmSC_PSA_SD_mNS0_19identity_decomposerEEEvT1_T2_T3_T4_jPT5_SK_PNS1_23onesweep_lookback_stateET6_jjj.num_named_barrier, 0
	.set _ZN7rocprim17ROCPRIM_304000_NS6detail25onesweep_iteration_kernelINS1_34wrapped_radix_sort_onesweep_configINS0_14default_configEmN2at4cuda3cub6detail10OpaqueTypeILi8EEEEELb0EPmSC_PSA_SD_mNS0_19identity_decomposerEEEvT1_T2_T3_T4_jPT5_SK_PNS1_23onesweep_lookback_stateET6_jjj.private_seg_size, 0
	.set _ZN7rocprim17ROCPRIM_304000_NS6detail25onesweep_iteration_kernelINS1_34wrapped_radix_sort_onesweep_configINS0_14default_configEmN2at4cuda3cub6detail10OpaqueTypeILi8EEEEELb0EPmSC_PSA_SD_mNS0_19identity_decomposerEEEvT1_T2_T3_T4_jPT5_SK_PNS1_23onesweep_lookback_stateET6_jjj.uses_vcc, 1
	.set _ZN7rocprim17ROCPRIM_304000_NS6detail25onesweep_iteration_kernelINS1_34wrapped_radix_sort_onesweep_configINS0_14default_configEmN2at4cuda3cub6detail10OpaqueTypeILi8EEEEELb0EPmSC_PSA_SD_mNS0_19identity_decomposerEEEvT1_T2_T3_T4_jPT5_SK_PNS1_23onesweep_lookback_stateET6_jjj.uses_flat_scratch, 0
	.set _ZN7rocprim17ROCPRIM_304000_NS6detail25onesweep_iteration_kernelINS1_34wrapped_radix_sort_onesweep_configINS0_14default_configEmN2at4cuda3cub6detail10OpaqueTypeILi8EEEEELb0EPmSC_PSA_SD_mNS0_19identity_decomposerEEEvT1_T2_T3_T4_jPT5_SK_PNS1_23onesweep_lookback_stateET6_jjj.has_dyn_sized_stack, 0
	.set _ZN7rocprim17ROCPRIM_304000_NS6detail25onesweep_iteration_kernelINS1_34wrapped_radix_sort_onesweep_configINS0_14default_configEmN2at4cuda3cub6detail10OpaqueTypeILi8EEEEELb0EPmSC_PSA_SD_mNS0_19identity_decomposerEEEvT1_T2_T3_T4_jPT5_SK_PNS1_23onesweep_lookback_stateET6_jjj.has_recursion, 0
	.set _ZN7rocprim17ROCPRIM_304000_NS6detail25onesweep_iteration_kernelINS1_34wrapped_radix_sort_onesweep_configINS0_14default_configEmN2at4cuda3cub6detail10OpaqueTypeILi8EEEEELb0EPmSC_PSA_SD_mNS0_19identity_decomposerEEEvT1_T2_T3_T4_jPT5_SK_PNS1_23onesweep_lookback_stateET6_jjj.has_indirect_call, 0
	.section	.AMDGPU.csdata,"",@progbits
; Kernel info:
; codeLenInByte = 10972
; TotalNumSgprs: 58
; NumVgprs: 47
; ScratchSize: 0
; MemoryBound: 0
; FloatMode: 240
; IeeeMode: 1
; LDSByteSize: 26624 bytes/workgroup (compile time only)
; SGPRBlocks: 12
; VGPRBlocks: 12
; NumSGPRsForWavesPerEU: 102
; NumVGPRsForWavesPerEU: 49
; Occupancy: 4
; WaveLimiterHint : 1
; COMPUTE_PGM_RSRC2:SCRATCH_EN: 0
; COMPUTE_PGM_RSRC2:USER_SGPR: 6
; COMPUTE_PGM_RSRC2:TRAP_HANDLER: 0
; COMPUTE_PGM_RSRC2:TGID_X_EN: 1
; COMPUTE_PGM_RSRC2:TGID_Y_EN: 0
; COMPUTE_PGM_RSRC2:TGID_Z_EN: 0
; COMPUTE_PGM_RSRC2:TIDIG_COMP_CNT: 2
	.section	.AMDGPU.gpr_maximums,"",@progbits
	.set amdgpu.max_num_vgpr, 0
	.set amdgpu.max_num_agpr, 0
	.set amdgpu.max_num_sgpr, 0
	.section	.AMDGPU.csdata,"",@progbits
	.type	__hip_cuid_41bce400ba256836,@object ; @__hip_cuid_41bce400ba256836
	.section	.bss,"aw",@nobits
	.globl	__hip_cuid_41bce400ba256836
__hip_cuid_41bce400ba256836:
	.byte	0                               ; 0x0
	.size	__hip_cuid_41bce400ba256836, 1

	.ident	"AMD clang version 22.0.0git (https://github.com/RadeonOpenCompute/llvm-project roc-7.2.4 26084 f58b06dce1f9c15707c5f808fd002e18c2accf7e)"
	.section	".note.GNU-stack","",@progbits
	.addrsig
	.addrsig_sym __hip_cuid_41bce400ba256836
	.amdgpu_metadata
---
amdhsa.kernels:
  - .args:
      - .address_space:  global
        .offset:         0
        .size:           8
        .value_kind:     global_buffer
      - .address_space:  global
        .offset:         8
        .size:           8
        .value_kind:     global_buffer
      - .address_space:  global
        .offset:         16
        .size:           8
        .value_kind:     global_buffer
      - .address_space:  global
        .offset:         24
        .size:           8
        .value_kind:     global_buffer
      - .offset:         32
        .size:           4
        .value_kind:     by_value
      - .offset:         36
        .size:           1
        .value_kind:     by_value
      - .offset:         40
        .size:           4
        .value_kind:     by_value
      - .offset:         44
        .size:           4
        .value_kind:     by_value
      - .offset:         48
        .size:           4
        .value_kind:     hidden_block_count_x
      - .offset:         52
        .size:           4
        .value_kind:     hidden_block_count_y
      - .offset:         56
        .size:           4
        .value_kind:     hidden_block_count_z
      - .offset:         60
        .size:           2
        .value_kind:     hidden_group_size_x
      - .offset:         62
        .size:           2
        .value_kind:     hidden_group_size_y
      - .offset:         64
        .size:           2
        .value_kind:     hidden_group_size_z
      - .offset:         66
        .size:           2
        .value_kind:     hidden_remainder_x
      - .offset:         68
        .size:           2
        .value_kind:     hidden_remainder_y
      - .offset:         70
        .size:           2
        .value_kind:     hidden_remainder_z
      - .offset:         88
        .size:           8
        .value_kind:     hidden_global_offset_x
      - .offset:         96
        .size:           8
        .value_kind:     hidden_global_offset_y
      - .offset:         104
        .size:           8
        .value_kind:     hidden_global_offset_z
      - .offset:         112
        .size:           2
        .value_kind:     hidden_grid_dims
    .group_segment_fixed_size: 8192
    .kernarg_segment_align: 8
    .kernarg_segment_size: 304
    .language:       OpenCL C
    .language_version:
      - 2
      - 0
    .max_flat_workgroup_size: 256
    .name:           _ZN7rocprim17ROCPRIM_304000_NS6detail28radix_sort_block_sort_kernelINS1_36wrapped_radix_sort_block_sort_configINS0_13kernel_configILj256ELj4ELj4294967295EEEmN2at4cuda3cub6detail10OpaqueTypeILi8EEEEELb1EPKmPmPKSB_PSB_NS0_19identity_decomposerEEEvT1_T2_T3_T4_jT5_jj
    .private_segment_fixed_size: 0
    .sgpr_count:     48
    .sgpr_spill_count: 0
    .symbol:         _ZN7rocprim17ROCPRIM_304000_NS6detail28radix_sort_block_sort_kernelINS1_36wrapped_radix_sort_block_sort_configINS0_13kernel_configILj256ELj4ELj4294967295EEEmN2at4cuda3cub6detail10OpaqueTypeILi8EEEEELb1EPKmPmPKSB_PSB_NS0_19identity_decomposerEEEvT1_T2_T3_T4_jT5_jj.kd
    .uniform_work_group_size: 1
    .uses_dynamic_stack: false
    .vgpr_count:     49
    .vgpr_spill_count: 0
    .wavefront_size: 64
  - .args:           []
    .group_segment_fixed_size: 0
    .kernarg_segment_align: 4
    .kernarg_segment_size: 0
    .language:       OpenCL C
    .language_version:
      - 2
      - 0
    .max_flat_workgroup_size: 1024
    .name:           _ZN7rocprim17ROCPRIM_304000_NS6detail39device_merge_sort_compile_time_verifierINS1_36wrapped_merge_sort_block_sort_configINS1_28merge_sort_block_sort_configILj256ELj4ELNS0_20block_sort_algorithmE0EEEmN2at4cuda3cub6detail10OpaqueTypeILi8EEEEENS1_37wrapped_merge_sort_block_merge_configINS0_14default_configEmSC_EEEEvv
    .private_segment_fixed_size: 0
    .sgpr_count:     4
    .sgpr_spill_count: 0
    .symbol:         _ZN7rocprim17ROCPRIM_304000_NS6detail39device_merge_sort_compile_time_verifierINS1_36wrapped_merge_sort_block_sort_configINS1_28merge_sort_block_sort_configILj256ELj4ELNS0_20block_sort_algorithmE0EEEmN2at4cuda3cub6detail10OpaqueTypeILi8EEEEENS1_37wrapped_merge_sort_block_merge_configINS0_14default_configEmSC_EEEEvv.kd
    .uniform_work_group_size: 1
    .uses_dynamic_stack: false
    .vgpr_count:     0
    .vgpr_spill_count: 0
    .wavefront_size: 64
  - .args:
      - .address_space:  global
        .offset:         0
        .size:           8
        .value_kind:     global_buffer
      - .offset:         8
        .size:           4
        .value_kind:     by_value
      - .offset:         12
        .size:           4
        .value_kind:     by_value
      - .address_space:  global
        .offset:         16
        .size:           8
        .value_kind:     global_buffer
      - .offset:         24
        .size:           1
        .value_kind:     by_value
      - .offset:         28
        .size:           4
        .value_kind:     by_value
    .group_segment_fixed_size: 0
    .kernarg_segment_align: 8
    .kernarg_segment_size: 32
    .language:       OpenCL C
    .language_version:
      - 2
      - 0
    .max_flat_workgroup_size: 128
    .name:           _ZN7rocprim17ROCPRIM_304000_NS6detail45device_block_merge_mergepath_partition_kernelINS1_37wrapped_merge_sort_block_merge_configINS0_14default_configEmN2at4cuda3cub6detail10OpaqueTypeILi8EEEEEPmjNS1_19radix_merge_compareILb1ELb0EmNS0_19identity_decomposerEEEEEvT0_T1_jPSH_T2_SH_
    .private_segment_fixed_size: 0
    .sgpr_count:     11
    .sgpr_spill_count: 0
    .symbol:         _ZN7rocprim17ROCPRIM_304000_NS6detail45device_block_merge_mergepath_partition_kernelINS1_37wrapped_merge_sort_block_merge_configINS0_14default_configEmN2at4cuda3cub6detail10OpaqueTypeILi8EEEEEPmjNS1_19radix_merge_compareILb1ELb0EmNS0_19identity_decomposerEEEEEvT0_T1_jPSH_T2_SH_.kd
    .uniform_work_group_size: 1
    .uses_dynamic_stack: false
    .vgpr_count:     19
    .vgpr_spill_count: 0
    .wavefront_size: 64
  - .args:
      - .address_space:  global
        .offset:         0
        .size:           8
        .value_kind:     global_buffer
      - .address_space:  global
        .offset:         8
        .size:           8
        .value_kind:     global_buffer
      - .address_space:  global
        .offset:         16
        .size:           8
        .value_kind:     global_buffer
      - .address_space:  global
        .offset:         24
        .size:           8
        .value_kind:     global_buffer
      - .offset:         32
        .size:           4
        .value_kind:     by_value
      - .offset:         36
        .size:           4
        .value_kind:     by_value
      - .offset:         40
        .size:           4
        .value_kind:     by_value
      - .offset:         44
        .size:           1
        .value_kind:     by_value
      - .address_space:  global
        .offset:         48
        .size:           8
        .value_kind:     global_buffer
      - .address_space:  global
        .offset:         56
        .size:           8
        .value_kind:     global_buffer
      - .offset:         64
        .size:           4
        .value_kind:     hidden_block_count_x
      - .offset:         68
        .size:           4
        .value_kind:     hidden_block_count_y
      - .offset:         72
        .size:           4
        .value_kind:     hidden_block_count_z
      - .offset:         76
        .size:           2
        .value_kind:     hidden_group_size_x
      - .offset:         78
        .size:           2
        .value_kind:     hidden_group_size_y
      - .offset:         80
        .size:           2
        .value_kind:     hidden_group_size_z
      - .offset:         82
        .size:           2
        .value_kind:     hidden_remainder_x
      - .offset:         84
        .size:           2
        .value_kind:     hidden_remainder_y
      - .offset:         86
        .size:           2
        .value_kind:     hidden_remainder_z
      - .offset:         104
        .size:           8
        .value_kind:     hidden_global_offset_x
      - .offset:         112
        .size:           8
        .value_kind:     hidden_global_offset_y
      - .offset:         120
        .size:           8
        .value_kind:     hidden_global_offset_z
      - .offset:         128
        .size:           2
        .value_kind:     hidden_grid_dims
    .group_segment_fixed_size: 8448
    .kernarg_segment_align: 8
    .kernarg_segment_size: 320
    .language:       OpenCL C
    .language_version:
      - 2
      - 0
    .max_flat_workgroup_size: 128
    .name:           _ZN7rocprim17ROCPRIM_304000_NS6detail35device_block_merge_mergepath_kernelINS1_37wrapped_merge_sort_block_merge_configINS0_14default_configEmN2at4cuda3cub6detail10OpaqueTypeILi8EEEEEPmSC_PSA_SD_jNS1_19radix_merge_compareILb1ELb0EmNS0_19identity_decomposerEEEEEvT0_T1_T2_T3_T4_SL_jT5_PKSL_NS1_7vsmem_tE
    .private_segment_fixed_size: 0
    .sgpr_count:     38
    .sgpr_spill_count: 0
    .symbol:         _ZN7rocprim17ROCPRIM_304000_NS6detail35device_block_merge_mergepath_kernelINS1_37wrapped_merge_sort_block_merge_configINS0_14default_configEmN2at4cuda3cub6detail10OpaqueTypeILi8EEEEEPmSC_PSA_SD_jNS1_19radix_merge_compareILb1ELb0EmNS0_19identity_decomposerEEEEEvT0_T1_T2_T3_T4_SL_jT5_PKSL_NS1_7vsmem_tE.kd
    .uniform_work_group_size: 1
    .uses_dynamic_stack: false
    .vgpr_count:     45
    .vgpr_spill_count: 0
    .wavefront_size: 64
  - .args:
      - .address_space:  global
        .offset:         0
        .size:           8
        .value_kind:     global_buffer
      - .address_space:  global
        .offset:         8
        .size:           8
        .value_kind:     global_buffer
      - .address_space:  global
        .offset:         16
        .size:           8
        .value_kind:     global_buffer
      - .address_space:  global
        .offset:         24
        .size:           8
        .value_kind:     global_buffer
      - .offset:         32
        .size:           4
        .value_kind:     by_value
      - .offset:         36
        .size:           4
        .value_kind:     by_value
      - .offset:         40
        .size:           1
        .value_kind:     by_value
    .group_segment_fixed_size: 0
    .kernarg_segment_align: 8
    .kernarg_segment_size: 44
    .language:       OpenCL C
    .language_version:
      - 2
      - 0
    .max_flat_workgroup_size: 256
    .name:           _ZN7rocprim17ROCPRIM_304000_NS6detail33device_block_merge_oddeven_kernelINS1_37wrapped_merge_sort_block_merge_configINS0_14default_configEmN2at4cuda3cub6detail10OpaqueTypeILi8EEEEEPmSC_PSA_SD_jNS1_19radix_merge_compareILb1ELb0EmNS0_19identity_decomposerEEEEEvT0_T1_T2_T3_T4_SL_T5_
    .private_segment_fixed_size: 0
    .sgpr_count:     26
    .sgpr_spill_count: 0
    .symbol:         _ZN7rocprim17ROCPRIM_304000_NS6detail33device_block_merge_oddeven_kernelINS1_37wrapped_merge_sort_block_merge_configINS0_14default_configEmN2at4cuda3cub6detail10OpaqueTypeILi8EEEEEPmSC_PSA_SD_jNS1_19radix_merge_compareILb1ELb0EmNS0_19identity_decomposerEEEEEvT0_T1_T2_T3_T4_SL_T5_.kd
    .uniform_work_group_size: 1
    .uses_dynamic_stack: false
    .vgpr_count:     14
    .vgpr_spill_count: 0
    .wavefront_size: 64
  - .args:
      - .address_space:  global
        .offset:         0
        .size:           8
        .value_kind:     global_buffer
      - .offset:         8
        .size:           8
        .value_kind:     by_value
      - .address_space:  global
        .offset:         16
        .size:           8
        .value_kind:     global_buffer
      - .offset:         24
        .size:           1
        .value_kind:     by_value
      - .offset:         32
        .size:           4
        .value_kind:     hidden_block_count_x
      - .offset:         36
        .size:           4
        .value_kind:     hidden_block_count_y
      - .offset:         40
        .size:           4
        .value_kind:     hidden_block_count_z
      - .offset:         44
        .size:           2
        .value_kind:     hidden_group_size_x
      - .offset:         46
        .size:           2
        .value_kind:     hidden_group_size_y
      - .offset:         48
        .size:           2
        .value_kind:     hidden_group_size_z
      - .offset:         50
        .size:           2
        .value_kind:     hidden_remainder_x
      - .offset:         52
        .size:           2
        .value_kind:     hidden_remainder_y
      - .offset:         54
        .size:           2
        .value_kind:     hidden_remainder_z
      - .offset:         72
        .size:           8
        .value_kind:     hidden_global_offset_x
      - .offset:         80
        .size:           8
        .value_kind:     hidden_global_offset_y
      - .offset:         88
        .size:           8
        .value_kind:     hidden_global_offset_z
      - .offset:         96
        .size:           2
        .value_kind:     hidden_grid_dims
    .group_segment_fixed_size: 0
    .kernarg_segment_align: 8
    .kernarg_segment_size: 288
    .language:       OpenCL C
    .language_version:
      - 2
      - 0
    .max_flat_workgroup_size: 512
    .name:           _ZN7rocprim17ROCPRIM_304000_NS6detail16transform_kernelINS1_24wrapped_transform_configINS0_14default_configEmEEmPmS6_NS0_8identityImEEEEvT1_mT2_T3_
    .private_segment_fixed_size: 0
    .sgpr_count:     14
    .sgpr_spill_count: 0
    .symbol:         _ZN7rocprim17ROCPRIM_304000_NS6detail16transform_kernelINS1_24wrapped_transform_configINS0_14default_configEmEEmPmS6_NS0_8identityImEEEEvT1_mT2_T3_.kd
    .uniform_work_group_size: 1
    .uses_dynamic_stack: false
    .vgpr_count:     3
    .vgpr_spill_count: 0
    .wavefront_size: 64
  - .args:
      - .address_space:  global
        .offset:         0
        .size:           8
        .value_kind:     global_buffer
      - .offset:         8
        .size:           8
        .value_kind:     by_value
      - .address_space:  global
        .offset:         16
        .size:           8
        .value_kind:     global_buffer
      - .offset:         24
        .size:           1
        .value_kind:     by_value
      - .offset:         32
        .size:           4
        .value_kind:     hidden_block_count_x
      - .offset:         36
        .size:           4
        .value_kind:     hidden_block_count_y
      - .offset:         40
        .size:           4
        .value_kind:     hidden_block_count_z
      - .offset:         44
        .size:           2
        .value_kind:     hidden_group_size_x
      - .offset:         46
        .size:           2
        .value_kind:     hidden_group_size_y
      - .offset:         48
        .size:           2
        .value_kind:     hidden_group_size_z
      - .offset:         50
        .size:           2
        .value_kind:     hidden_remainder_x
      - .offset:         52
        .size:           2
        .value_kind:     hidden_remainder_y
      - .offset:         54
        .size:           2
        .value_kind:     hidden_remainder_z
      - .offset:         72
        .size:           8
        .value_kind:     hidden_global_offset_x
      - .offset:         80
        .size:           8
        .value_kind:     hidden_global_offset_y
      - .offset:         88
        .size:           8
        .value_kind:     hidden_global_offset_z
      - .offset:         96
        .size:           2
        .value_kind:     hidden_grid_dims
    .group_segment_fixed_size: 0
    .kernarg_segment_align: 8
    .kernarg_segment_size: 288
    .language:       OpenCL C
    .language_version:
      - 2
      - 0
    .max_flat_workgroup_size: 512
    .name:           _ZN7rocprim17ROCPRIM_304000_NS6detail16transform_kernelINS1_24wrapped_transform_configINS0_14default_configEN2at4cuda3cub6detail10OpaqueTypeILi8EEEEESA_PSA_SC_NS0_8identityISA_EEEEvT1_mT2_T3_
    .private_segment_fixed_size: 0
    .sgpr_count:     14
    .sgpr_spill_count: 0
    .symbol:         _ZN7rocprim17ROCPRIM_304000_NS6detail16transform_kernelINS1_24wrapped_transform_configINS0_14default_configEN2at4cuda3cub6detail10OpaqueTypeILi8EEEEESA_PSA_SC_NS0_8identityISA_EEEEvT1_mT2_T3_.kd
    .uniform_work_group_size: 1
    .uses_dynamic_stack: false
    .vgpr_count:     3
    .vgpr_spill_count: 0
    .wavefront_size: 64
  - .args:
      - .address_space:  global
        .offset:         0
        .size:           8
        .value_kind:     global_buffer
      - .offset:         8
        .size:           4
        .value_kind:     by_value
      - .offset:         12
        .size:           4
        .value_kind:     by_value
      - .address_space:  global
        .offset:         16
        .size:           8
        .value_kind:     global_buffer
      - .offset:         24
        .size:           8
        .value_kind:     by_value
      - .offset:         32
        .size:           4
        .value_kind:     by_value
    .group_segment_fixed_size: 0
    .kernarg_segment_align: 8
    .kernarg_segment_size: 36
    .language:       OpenCL C
    .language_version:
      - 2
      - 0
    .max_flat_workgroup_size: 128
    .name:           _ZN7rocprim17ROCPRIM_304000_NS6detail45device_block_merge_mergepath_partition_kernelINS1_37wrapped_merge_sort_block_merge_configINS0_14default_configEmN2at4cuda3cub6detail10OpaqueTypeILi8EEEEEPmjNS1_19radix_merge_compareILb1ELb1EmNS0_19identity_decomposerEEEEEvT0_T1_jPSH_T2_SH_
    .private_segment_fixed_size: 0
    .sgpr_count:     14
    .sgpr_spill_count: 0
    .symbol:         _ZN7rocprim17ROCPRIM_304000_NS6detail45device_block_merge_mergepath_partition_kernelINS1_37wrapped_merge_sort_block_merge_configINS0_14default_configEmN2at4cuda3cub6detail10OpaqueTypeILi8EEEEEPmjNS1_19radix_merge_compareILb1ELb1EmNS0_19identity_decomposerEEEEEvT0_T1_jPSH_T2_SH_.kd
    .uniform_work_group_size: 1
    .uses_dynamic_stack: false
    .vgpr_count:     16
    .vgpr_spill_count: 0
    .wavefront_size: 64
  - .args:
      - .address_space:  global
        .offset:         0
        .size:           8
        .value_kind:     global_buffer
      - .address_space:  global
        .offset:         8
        .size:           8
        .value_kind:     global_buffer
      - .address_space:  global
        .offset:         16
        .size:           8
        .value_kind:     global_buffer
      - .address_space:  global
        .offset:         24
        .size:           8
        .value_kind:     global_buffer
      - .offset:         32
        .size:           4
        .value_kind:     by_value
      - .offset:         36
        .size:           4
        .value_kind:     by_value
      - .offset:         40
        .size:           4
        .value_kind:     by_value
      - .offset:         48
        .size:           8
        .value_kind:     by_value
      - .address_space:  global
        .offset:         56
        .size:           8
        .value_kind:     global_buffer
      - .address_space:  global
        .offset:         64
        .size:           8
        .value_kind:     global_buffer
      - .offset:         72
        .size:           4
        .value_kind:     hidden_block_count_x
      - .offset:         76
        .size:           4
        .value_kind:     hidden_block_count_y
      - .offset:         80
        .size:           4
        .value_kind:     hidden_block_count_z
      - .offset:         84
        .size:           2
        .value_kind:     hidden_group_size_x
      - .offset:         86
        .size:           2
        .value_kind:     hidden_group_size_y
      - .offset:         88
        .size:           2
        .value_kind:     hidden_group_size_z
      - .offset:         90
        .size:           2
        .value_kind:     hidden_remainder_x
      - .offset:         92
        .size:           2
        .value_kind:     hidden_remainder_y
      - .offset:         94
        .size:           2
        .value_kind:     hidden_remainder_z
      - .offset:         112
        .size:           8
        .value_kind:     hidden_global_offset_x
      - .offset:         120
        .size:           8
        .value_kind:     hidden_global_offset_y
      - .offset:         128
        .size:           8
        .value_kind:     hidden_global_offset_z
      - .offset:         136
        .size:           2
        .value_kind:     hidden_grid_dims
    .group_segment_fixed_size: 8448
    .kernarg_segment_align: 8
    .kernarg_segment_size: 328
    .language:       OpenCL C
    .language_version:
      - 2
      - 0
    .max_flat_workgroup_size: 128
    .name:           _ZN7rocprim17ROCPRIM_304000_NS6detail35device_block_merge_mergepath_kernelINS1_37wrapped_merge_sort_block_merge_configINS0_14default_configEmN2at4cuda3cub6detail10OpaqueTypeILi8EEEEEPmSC_PSA_SD_jNS1_19radix_merge_compareILb1ELb1EmNS0_19identity_decomposerEEEEEvT0_T1_T2_T3_T4_SL_jT5_PKSL_NS1_7vsmem_tE
    .private_segment_fixed_size: 0
    .sgpr_count:     40
    .sgpr_spill_count: 0
    .symbol:         _ZN7rocprim17ROCPRIM_304000_NS6detail35device_block_merge_mergepath_kernelINS1_37wrapped_merge_sort_block_merge_configINS0_14default_configEmN2at4cuda3cub6detail10OpaqueTypeILi8EEEEEPmSC_PSA_SD_jNS1_19radix_merge_compareILb1ELb1EmNS0_19identity_decomposerEEEEEvT0_T1_T2_T3_T4_SL_jT5_PKSL_NS1_7vsmem_tE.kd
    .uniform_work_group_size: 1
    .uses_dynamic_stack: false
    .vgpr_count:     45
    .vgpr_spill_count: 0
    .wavefront_size: 64
  - .args:
      - .address_space:  global
        .offset:         0
        .size:           8
        .value_kind:     global_buffer
      - .address_space:  global
        .offset:         8
        .size:           8
        .value_kind:     global_buffer
      - .address_space:  global
        .offset:         16
        .size:           8
        .value_kind:     global_buffer
      - .address_space:  global
        .offset:         24
        .size:           8
        .value_kind:     global_buffer
      - .offset:         32
        .size:           4
        .value_kind:     by_value
      - .offset:         36
        .size:           4
        .value_kind:     by_value
      - .offset:         40
        .size:           8
        .value_kind:     by_value
    .group_segment_fixed_size: 0
    .kernarg_segment_align: 8
    .kernarg_segment_size: 48
    .language:       OpenCL C
    .language_version:
      - 2
      - 0
    .max_flat_workgroup_size: 256
    .name:           _ZN7rocprim17ROCPRIM_304000_NS6detail33device_block_merge_oddeven_kernelINS1_37wrapped_merge_sort_block_merge_configINS0_14default_configEmN2at4cuda3cub6detail10OpaqueTypeILi8EEEEEPmSC_PSA_SD_jNS1_19radix_merge_compareILb1ELb1EmNS0_19identity_decomposerEEEEEvT0_T1_T2_T3_T4_SL_T5_
    .private_segment_fixed_size: 0
    .sgpr_count:     28
    .sgpr_spill_count: 0
    .symbol:         _ZN7rocprim17ROCPRIM_304000_NS6detail33device_block_merge_oddeven_kernelINS1_37wrapped_merge_sort_block_merge_configINS0_14default_configEmN2at4cuda3cub6detail10OpaqueTypeILi8EEEEEPmSC_PSA_SD_jNS1_19radix_merge_compareILb1ELb1EmNS0_19identity_decomposerEEEEEvT0_T1_T2_T3_T4_SL_T5_.kd
    .uniform_work_group_size: 1
    .uses_dynamic_stack: false
    .vgpr_count:     16
    .vgpr_spill_count: 0
    .wavefront_size: 64
  - .args:
      - .address_space:  global
        .offset:         0
        .size:           8
        .value_kind:     global_buffer
      - .address_space:  global
        .offset:         8
        .size:           8
        .value_kind:     global_buffer
      - .offset:         16
        .size:           8
        .value_kind:     by_value
      - .offset:         24
        .size:           8
        .value_kind:     by_value
      - .offset:         32
        .size:           1
        .value_kind:     by_value
      - .offset:         36
        .size:           4
        .value_kind:     by_value
      - .offset:         40
        .size:           4
        .value_kind:     by_value
    .group_segment_fixed_size: 32768
    .kernarg_segment_align: 8
    .kernarg_segment_size: 44
    .language:       OpenCL C
    .language_version:
      - 2
      - 0
    .max_flat_workgroup_size: 512
    .name:           _ZN7rocprim17ROCPRIM_304000_NS6detail26onesweep_histograms_kernelINS1_34wrapped_radix_sort_onesweep_configINS0_14default_configEmN2at4cuda3cub6detail10OpaqueTypeILi8EEEEELb1EPKmmNS0_19identity_decomposerEEEvT1_PT2_SG_SG_T3_jj
    .private_segment_fixed_size: 0
    .sgpr_count:     30
    .sgpr_spill_count: 0
    .symbol:         _ZN7rocprim17ROCPRIM_304000_NS6detail26onesweep_histograms_kernelINS1_34wrapped_radix_sort_onesweep_configINS0_14default_configEmN2at4cuda3cub6detail10OpaqueTypeILi8EEEEELb1EPKmmNS0_19identity_decomposerEEEvT1_PT2_SG_SG_T3_jj.kd
    .uniform_work_group_size: 1
    .uses_dynamic_stack: false
    .vgpr_count:     25
    .vgpr_spill_count: 0
    .wavefront_size: 64
  - .args:
      - .address_space:  global
        .offset:         0
        .size:           8
        .value_kind:     global_buffer
    .group_segment_fixed_size: 64
    .kernarg_segment_align: 8
    .kernarg_segment_size: 8
    .language:       OpenCL C
    .language_version:
      - 2
      - 0
    .max_flat_workgroup_size: 512
    .name:           _ZN7rocprim17ROCPRIM_304000_NS6detail31onesweep_scan_histograms_kernelINS1_34wrapped_radix_sort_onesweep_configINS0_14default_configEmN2at4cuda3cub6detail10OpaqueTypeILi8EEEEEmEEvPT0_
    .private_segment_fixed_size: 0
    .sgpr_count:     12
    .sgpr_spill_count: 0
    .symbol:         _ZN7rocprim17ROCPRIM_304000_NS6detail31onesweep_scan_histograms_kernelINS1_34wrapped_radix_sort_onesweep_configINS0_14default_configEmN2at4cuda3cub6detail10OpaqueTypeILi8EEEEEmEEvPT0_.kd
    .uniform_work_group_size: 1
    .uses_dynamic_stack: false
    .vgpr_count:     12
    .vgpr_spill_count: 0
    .wavefront_size: 64
  - .args:
      - .address_space:  global
        .offset:         0
        .size:           8
        .value_kind:     global_buffer
      - .offset:         8
        .size:           8
        .value_kind:     by_value
      - .address_space:  global
        .offset:         16
        .size:           8
        .value_kind:     global_buffer
      - .offset:         24
        .size:           1
        .value_kind:     by_value
      - .offset:         32
        .size:           4
        .value_kind:     hidden_block_count_x
      - .offset:         36
        .size:           4
        .value_kind:     hidden_block_count_y
      - .offset:         40
        .size:           4
        .value_kind:     hidden_block_count_z
      - .offset:         44
        .size:           2
        .value_kind:     hidden_group_size_x
      - .offset:         46
        .size:           2
        .value_kind:     hidden_group_size_y
      - .offset:         48
        .size:           2
        .value_kind:     hidden_group_size_z
      - .offset:         50
        .size:           2
        .value_kind:     hidden_remainder_x
      - .offset:         52
        .size:           2
        .value_kind:     hidden_remainder_y
      - .offset:         54
        .size:           2
        .value_kind:     hidden_remainder_z
      - .offset:         72
        .size:           8
        .value_kind:     hidden_global_offset_x
      - .offset:         80
        .size:           8
        .value_kind:     hidden_global_offset_y
      - .offset:         88
        .size:           8
        .value_kind:     hidden_global_offset_z
      - .offset:         96
        .size:           2
        .value_kind:     hidden_grid_dims
    .group_segment_fixed_size: 0
    .kernarg_segment_align: 8
    .kernarg_segment_size: 288
    .language:       OpenCL C
    .language_version:
      - 2
      - 0
    .max_flat_workgroup_size: 512
    .name:           _ZN7rocprim17ROCPRIM_304000_NS6detail16transform_kernelINS1_24wrapped_transform_configINS0_14default_configEmEEmPKmPmNS0_8identityImEEEEvT1_mT2_T3_
    .private_segment_fixed_size: 0
    .sgpr_count:     14
    .sgpr_spill_count: 0
    .symbol:         _ZN7rocprim17ROCPRIM_304000_NS6detail16transform_kernelINS1_24wrapped_transform_configINS0_14default_configEmEEmPKmPmNS0_8identityImEEEEvT1_mT2_T3_.kd
    .uniform_work_group_size: 1
    .uses_dynamic_stack: false
    .vgpr_count:     3
    .vgpr_spill_count: 0
    .wavefront_size: 64
  - .args:
      - .address_space:  global
        .offset:         0
        .size:           8
        .value_kind:     global_buffer
      - .offset:         8
        .size:           8
        .value_kind:     by_value
      - .address_space:  global
        .offset:         16
        .size:           8
        .value_kind:     global_buffer
      - .offset:         24
        .size:           1
        .value_kind:     by_value
      - .offset:         32
        .size:           4
        .value_kind:     hidden_block_count_x
      - .offset:         36
        .size:           4
        .value_kind:     hidden_block_count_y
      - .offset:         40
        .size:           4
        .value_kind:     hidden_block_count_z
      - .offset:         44
        .size:           2
        .value_kind:     hidden_group_size_x
      - .offset:         46
        .size:           2
        .value_kind:     hidden_group_size_y
      - .offset:         48
        .size:           2
        .value_kind:     hidden_group_size_z
      - .offset:         50
        .size:           2
        .value_kind:     hidden_remainder_x
      - .offset:         52
        .size:           2
        .value_kind:     hidden_remainder_y
      - .offset:         54
        .size:           2
        .value_kind:     hidden_remainder_z
      - .offset:         72
        .size:           8
        .value_kind:     hidden_global_offset_x
      - .offset:         80
        .size:           8
        .value_kind:     hidden_global_offset_y
      - .offset:         88
        .size:           8
        .value_kind:     hidden_global_offset_z
      - .offset:         96
        .size:           2
        .value_kind:     hidden_grid_dims
    .group_segment_fixed_size: 0
    .kernarg_segment_align: 8
    .kernarg_segment_size: 288
    .language:       OpenCL C
    .language_version:
      - 2
      - 0
    .max_flat_workgroup_size: 512
    .name:           _ZN7rocprim17ROCPRIM_304000_NS6detail16transform_kernelINS1_24wrapped_transform_configINS0_14default_configEN2at4cuda3cub6detail10OpaqueTypeILi8EEEEESA_PKSA_PSA_NS0_8identityISA_EEEEvT1_mT2_T3_
    .private_segment_fixed_size: 0
    .sgpr_count:     14
    .sgpr_spill_count: 0
    .symbol:         _ZN7rocprim17ROCPRIM_304000_NS6detail16transform_kernelINS1_24wrapped_transform_configINS0_14default_configEN2at4cuda3cub6detail10OpaqueTypeILi8EEEEESA_PKSA_PSA_NS0_8identityISA_EEEEvT1_mT2_T3_.kd
    .uniform_work_group_size: 1
    .uses_dynamic_stack: false
    .vgpr_count:     3
    .vgpr_spill_count: 0
    .wavefront_size: 64
  - .args:
      - .address_space:  global
        .offset:         0
        .size:           8
        .value_kind:     global_buffer
      - .address_space:  global
        .offset:         8
        .size:           8
        .value_kind:     global_buffer
      - .address_space:  global
        .offset:         16
        .size:           8
        .value_kind:     global_buffer
      - .address_space:  global
        .offset:         24
        .size:           8
        .value_kind:     global_buffer
      - .offset:         32
        .size:           4
        .value_kind:     by_value
      - .address_space:  global
        .offset:         40
        .size:           8
        .value_kind:     global_buffer
      - .address_space:  global
        .offset:         48
        .size:           8
        .value_kind:     global_buffer
      - .address_space:  global
        .offset:         56
        .size:           8
        .value_kind:     global_buffer
      - .offset:         64
        .size:           1
        .value_kind:     by_value
      - .offset:         68
        .size:           4
        .value_kind:     by_value
      - .offset:         72
        .size:           4
        .value_kind:     by_value
      - .offset:         76
        .size:           4
        .value_kind:     by_value
      - .offset:         80
        .size:           4
        .value_kind:     hidden_block_count_x
      - .offset:         84
        .size:           4
        .value_kind:     hidden_block_count_y
      - .offset:         88
        .size:           4
        .value_kind:     hidden_block_count_z
      - .offset:         92
        .size:           2
        .value_kind:     hidden_group_size_x
      - .offset:         94
        .size:           2
        .value_kind:     hidden_group_size_y
      - .offset:         96
        .size:           2
        .value_kind:     hidden_group_size_z
      - .offset:         98
        .size:           2
        .value_kind:     hidden_remainder_x
      - .offset:         100
        .size:           2
        .value_kind:     hidden_remainder_y
      - .offset:         102
        .size:           2
        .value_kind:     hidden_remainder_z
      - .offset:         120
        .size:           8
        .value_kind:     hidden_global_offset_x
      - .offset:         128
        .size:           8
        .value_kind:     hidden_global_offset_y
      - .offset:         136
        .size:           8
        .value_kind:     hidden_global_offset_z
      - .offset:         144
        .size:           2
        .value_kind:     hidden_grid_dims
    .group_segment_fixed_size: 26624
    .kernarg_segment_align: 8
    .kernarg_segment_size: 336
    .language:       OpenCL C
    .language_version:
      - 2
      - 0
    .max_flat_workgroup_size: 512
    .name:           _ZN7rocprim17ROCPRIM_304000_NS6detail25onesweep_iteration_kernelINS1_34wrapped_radix_sort_onesweep_configINS0_14default_configEmN2at4cuda3cub6detail10OpaqueTypeILi8EEEEELb1EPKmPmPKSA_PSA_mNS0_19identity_decomposerEEEvT1_T2_T3_T4_jPT5_SO_PNS1_23onesweep_lookback_stateET6_jjj
    .private_segment_fixed_size: 0
    .sgpr_count:     58
    .sgpr_spill_count: 0
    .symbol:         _ZN7rocprim17ROCPRIM_304000_NS6detail25onesweep_iteration_kernelINS1_34wrapped_radix_sort_onesweep_configINS0_14default_configEmN2at4cuda3cub6detail10OpaqueTypeILi8EEEEELb1EPKmPmPKSA_PSA_mNS0_19identity_decomposerEEEvT1_T2_T3_T4_jPT5_SO_PNS1_23onesweep_lookback_stateET6_jjj.kd
    .uniform_work_group_size: 1
    .uses_dynamic_stack: false
    .vgpr_count:     47
    .vgpr_spill_count: 0
    .wavefront_size: 64
  - .args:
      - .address_space:  global
        .offset:         0
        .size:           8
        .value_kind:     global_buffer
      - .address_space:  global
        .offset:         8
        .size:           8
        .value_kind:     global_buffer
      - .address_space:  global
        .offset:         16
        .size:           8
        .value_kind:     global_buffer
      - .address_space:  global
        .offset:         24
        .size:           8
        .value_kind:     global_buffer
      - .offset:         32
        .size:           4
        .value_kind:     by_value
      - .address_space:  global
        .offset:         40
        .size:           8
        .value_kind:     global_buffer
      - .address_space:  global
        .offset:         48
        .size:           8
        .value_kind:     global_buffer
      - .address_space:  global
        .offset:         56
        .size:           8
        .value_kind:     global_buffer
      - .offset:         64
        .size:           1
        .value_kind:     by_value
      - .offset:         68
        .size:           4
        .value_kind:     by_value
      - .offset:         72
        .size:           4
        .value_kind:     by_value
      - .offset:         76
        .size:           4
        .value_kind:     by_value
      - .offset:         80
        .size:           4
        .value_kind:     hidden_block_count_x
      - .offset:         84
        .size:           4
        .value_kind:     hidden_block_count_y
      - .offset:         88
        .size:           4
        .value_kind:     hidden_block_count_z
      - .offset:         92
        .size:           2
        .value_kind:     hidden_group_size_x
      - .offset:         94
        .size:           2
        .value_kind:     hidden_group_size_y
      - .offset:         96
        .size:           2
        .value_kind:     hidden_group_size_z
      - .offset:         98
        .size:           2
        .value_kind:     hidden_remainder_x
      - .offset:         100
        .size:           2
        .value_kind:     hidden_remainder_y
      - .offset:         102
        .size:           2
        .value_kind:     hidden_remainder_z
      - .offset:         120
        .size:           8
        .value_kind:     hidden_global_offset_x
      - .offset:         128
        .size:           8
        .value_kind:     hidden_global_offset_y
      - .offset:         136
        .size:           8
        .value_kind:     hidden_global_offset_z
      - .offset:         144
        .size:           2
        .value_kind:     hidden_grid_dims
    .group_segment_fixed_size: 26624
    .kernarg_segment_align: 8
    .kernarg_segment_size: 336
    .language:       OpenCL C
    .language_version:
      - 2
      - 0
    .max_flat_workgroup_size: 512
    .name:           _ZN7rocprim17ROCPRIM_304000_NS6detail25onesweep_iteration_kernelINS1_34wrapped_radix_sort_onesweep_configINS0_14default_configEmN2at4cuda3cub6detail10OpaqueTypeILi8EEEEELb1EPmSC_PSA_SD_mNS0_19identity_decomposerEEEvT1_T2_T3_T4_jPT5_SK_PNS1_23onesweep_lookback_stateET6_jjj
    .private_segment_fixed_size: 0
    .sgpr_count:     58
    .sgpr_spill_count: 0
    .symbol:         _ZN7rocprim17ROCPRIM_304000_NS6detail25onesweep_iteration_kernelINS1_34wrapped_radix_sort_onesweep_configINS0_14default_configEmN2at4cuda3cub6detail10OpaqueTypeILi8EEEEELb1EPmSC_PSA_SD_mNS0_19identity_decomposerEEEvT1_T2_T3_T4_jPT5_SK_PNS1_23onesweep_lookback_stateET6_jjj.kd
    .uniform_work_group_size: 1
    .uses_dynamic_stack: false
    .vgpr_count:     47
    .vgpr_spill_count: 0
    .wavefront_size: 64
  - .args:
      - .address_space:  global
        .offset:         0
        .size:           8
        .value_kind:     global_buffer
      - .address_space:  global
        .offset:         8
        .size:           8
        .value_kind:     global_buffer
      - .address_space:  global
        .offset:         16
        .size:           8
        .value_kind:     global_buffer
      - .address_space:  global
        .offset:         24
        .size:           8
        .value_kind:     global_buffer
      - .offset:         32
        .size:           4
        .value_kind:     by_value
      - .offset:         36
        .size:           1
        .value_kind:     by_value
      - .offset:         40
        .size:           4
        .value_kind:     by_value
      - .offset:         44
        .size:           4
        .value_kind:     by_value
      - .offset:         48
        .size:           4
        .value_kind:     hidden_block_count_x
      - .offset:         52
        .size:           4
        .value_kind:     hidden_block_count_y
      - .offset:         56
        .size:           4
        .value_kind:     hidden_block_count_z
      - .offset:         60
        .size:           2
        .value_kind:     hidden_group_size_x
      - .offset:         62
        .size:           2
        .value_kind:     hidden_group_size_y
      - .offset:         64
        .size:           2
        .value_kind:     hidden_group_size_z
      - .offset:         66
        .size:           2
        .value_kind:     hidden_remainder_x
      - .offset:         68
        .size:           2
        .value_kind:     hidden_remainder_y
      - .offset:         70
        .size:           2
        .value_kind:     hidden_remainder_z
      - .offset:         88
        .size:           8
        .value_kind:     hidden_global_offset_x
      - .offset:         96
        .size:           8
        .value_kind:     hidden_global_offset_y
      - .offset:         104
        .size:           8
        .value_kind:     hidden_global_offset_z
      - .offset:         112
        .size:           2
        .value_kind:     hidden_grid_dims
    .group_segment_fixed_size: 8192
    .kernarg_segment_align: 8
    .kernarg_segment_size: 304
    .language:       OpenCL C
    .language_version:
      - 2
      - 0
    .max_flat_workgroup_size: 256
    .name:           _ZN7rocprim17ROCPRIM_304000_NS6detail28radix_sort_block_sort_kernelINS1_36wrapped_radix_sort_block_sort_configINS0_13kernel_configILj256ELj4ELj4294967295EEEmN2at4cuda3cub6detail10OpaqueTypeILi8EEEEELb0EPKmPmPKSB_PSB_NS0_19identity_decomposerEEEvT1_T2_T3_T4_jT5_jj
    .private_segment_fixed_size: 0
    .sgpr_count:     48
    .sgpr_spill_count: 0
    .symbol:         _ZN7rocprim17ROCPRIM_304000_NS6detail28radix_sort_block_sort_kernelINS1_36wrapped_radix_sort_block_sort_configINS0_13kernel_configILj256ELj4ELj4294967295EEEmN2at4cuda3cub6detail10OpaqueTypeILi8EEEEELb0EPKmPmPKSB_PSB_NS0_19identity_decomposerEEEvT1_T2_T3_T4_jT5_jj.kd
    .uniform_work_group_size: 1
    .uses_dynamic_stack: false
    .vgpr_count:     49
    .vgpr_spill_count: 0
    .wavefront_size: 64
  - .args:
      - .address_space:  global
        .offset:         0
        .size:           8
        .value_kind:     global_buffer
      - .offset:         8
        .size:           4
        .value_kind:     by_value
      - .offset:         12
        .size:           4
        .value_kind:     by_value
      - .address_space:  global
        .offset:         16
        .size:           8
        .value_kind:     global_buffer
      - .offset:         24
        .size:           1
        .value_kind:     by_value
      - .offset:         28
        .size:           4
        .value_kind:     by_value
    .group_segment_fixed_size: 0
    .kernarg_segment_align: 8
    .kernarg_segment_size: 32
    .language:       OpenCL C
    .language_version:
      - 2
      - 0
    .max_flat_workgroup_size: 128
    .name:           _ZN7rocprim17ROCPRIM_304000_NS6detail45device_block_merge_mergepath_partition_kernelINS1_37wrapped_merge_sort_block_merge_configINS0_14default_configEmN2at4cuda3cub6detail10OpaqueTypeILi8EEEEEPmjNS1_19radix_merge_compareILb0ELb0EmNS0_19identity_decomposerEEEEEvT0_T1_jPSH_T2_SH_
    .private_segment_fixed_size: 0
    .sgpr_count:     11
    .sgpr_spill_count: 0
    .symbol:         _ZN7rocprim17ROCPRIM_304000_NS6detail45device_block_merge_mergepath_partition_kernelINS1_37wrapped_merge_sort_block_merge_configINS0_14default_configEmN2at4cuda3cub6detail10OpaqueTypeILi8EEEEEPmjNS1_19radix_merge_compareILb0ELb0EmNS0_19identity_decomposerEEEEEvT0_T1_jPSH_T2_SH_.kd
    .uniform_work_group_size: 1
    .uses_dynamic_stack: false
    .vgpr_count:     19
    .vgpr_spill_count: 0
    .wavefront_size: 64
  - .args:
      - .address_space:  global
        .offset:         0
        .size:           8
        .value_kind:     global_buffer
      - .address_space:  global
        .offset:         8
        .size:           8
        .value_kind:     global_buffer
      - .address_space:  global
        .offset:         16
        .size:           8
        .value_kind:     global_buffer
      - .address_space:  global
        .offset:         24
        .size:           8
        .value_kind:     global_buffer
      - .offset:         32
        .size:           4
        .value_kind:     by_value
      - .offset:         36
        .size:           4
        .value_kind:     by_value
      - .offset:         40
        .size:           4
        .value_kind:     by_value
      - .offset:         44
        .size:           1
        .value_kind:     by_value
      - .address_space:  global
        .offset:         48
        .size:           8
        .value_kind:     global_buffer
      - .address_space:  global
        .offset:         56
        .size:           8
        .value_kind:     global_buffer
      - .offset:         64
        .size:           4
        .value_kind:     hidden_block_count_x
      - .offset:         68
        .size:           4
        .value_kind:     hidden_block_count_y
      - .offset:         72
        .size:           4
        .value_kind:     hidden_block_count_z
      - .offset:         76
        .size:           2
        .value_kind:     hidden_group_size_x
      - .offset:         78
        .size:           2
        .value_kind:     hidden_group_size_y
      - .offset:         80
        .size:           2
        .value_kind:     hidden_group_size_z
      - .offset:         82
        .size:           2
        .value_kind:     hidden_remainder_x
      - .offset:         84
        .size:           2
        .value_kind:     hidden_remainder_y
      - .offset:         86
        .size:           2
        .value_kind:     hidden_remainder_z
      - .offset:         104
        .size:           8
        .value_kind:     hidden_global_offset_x
      - .offset:         112
        .size:           8
        .value_kind:     hidden_global_offset_y
      - .offset:         120
        .size:           8
        .value_kind:     hidden_global_offset_z
      - .offset:         128
        .size:           2
        .value_kind:     hidden_grid_dims
    .group_segment_fixed_size: 8448
    .kernarg_segment_align: 8
    .kernarg_segment_size: 320
    .language:       OpenCL C
    .language_version:
      - 2
      - 0
    .max_flat_workgroup_size: 128
    .name:           _ZN7rocprim17ROCPRIM_304000_NS6detail35device_block_merge_mergepath_kernelINS1_37wrapped_merge_sort_block_merge_configINS0_14default_configEmN2at4cuda3cub6detail10OpaqueTypeILi8EEEEEPmSC_PSA_SD_jNS1_19radix_merge_compareILb0ELb0EmNS0_19identity_decomposerEEEEEvT0_T1_T2_T3_T4_SL_jT5_PKSL_NS1_7vsmem_tE
    .private_segment_fixed_size: 0
    .sgpr_count:     38
    .sgpr_spill_count: 0
    .symbol:         _ZN7rocprim17ROCPRIM_304000_NS6detail35device_block_merge_mergepath_kernelINS1_37wrapped_merge_sort_block_merge_configINS0_14default_configEmN2at4cuda3cub6detail10OpaqueTypeILi8EEEEEPmSC_PSA_SD_jNS1_19radix_merge_compareILb0ELb0EmNS0_19identity_decomposerEEEEEvT0_T1_T2_T3_T4_SL_jT5_PKSL_NS1_7vsmem_tE.kd
    .uniform_work_group_size: 1
    .uses_dynamic_stack: false
    .vgpr_count:     45
    .vgpr_spill_count: 0
    .wavefront_size: 64
  - .args:
      - .address_space:  global
        .offset:         0
        .size:           8
        .value_kind:     global_buffer
      - .address_space:  global
        .offset:         8
        .size:           8
        .value_kind:     global_buffer
      - .address_space:  global
        .offset:         16
        .size:           8
        .value_kind:     global_buffer
      - .address_space:  global
        .offset:         24
        .size:           8
        .value_kind:     global_buffer
      - .offset:         32
        .size:           4
        .value_kind:     by_value
      - .offset:         36
        .size:           4
        .value_kind:     by_value
      - .offset:         40
        .size:           1
        .value_kind:     by_value
    .group_segment_fixed_size: 0
    .kernarg_segment_align: 8
    .kernarg_segment_size: 44
    .language:       OpenCL C
    .language_version:
      - 2
      - 0
    .max_flat_workgroup_size: 256
    .name:           _ZN7rocprim17ROCPRIM_304000_NS6detail33device_block_merge_oddeven_kernelINS1_37wrapped_merge_sort_block_merge_configINS0_14default_configEmN2at4cuda3cub6detail10OpaqueTypeILi8EEEEEPmSC_PSA_SD_jNS1_19radix_merge_compareILb0ELb0EmNS0_19identity_decomposerEEEEEvT0_T1_T2_T3_T4_SL_T5_
    .private_segment_fixed_size: 0
    .sgpr_count:     26
    .sgpr_spill_count: 0
    .symbol:         _ZN7rocprim17ROCPRIM_304000_NS6detail33device_block_merge_oddeven_kernelINS1_37wrapped_merge_sort_block_merge_configINS0_14default_configEmN2at4cuda3cub6detail10OpaqueTypeILi8EEEEEPmSC_PSA_SD_jNS1_19radix_merge_compareILb0ELb0EmNS0_19identity_decomposerEEEEEvT0_T1_T2_T3_T4_SL_T5_.kd
    .uniform_work_group_size: 1
    .uses_dynamic_stack: false
    .vgpr_count:     14
    .vgpr_spill_count: 0
    .wavefront_size: 64
  - .args:
      - .address_space:  global
        .offset:         0
        .size:           8
        .value_kind:     global_buffer
      - .offset:         8
        .size:           4
        .value_kind:     by_value
      - .offset:         12
        .size:           4
        .value_kind:     by_value
      - .address_space:  global
        .offset:         16
        .size:           8
        .value_kind:     global_buffer
      - .offset:         24
        .size:           8
        .value_kind:     by_value
      - .offset:         32
        .size:           4
        .value_kind:     by_value
    .group_segment_fixed_size: 0
    .kernarg_segment_align: 8
    .kernarg_segment_size: 36
    .language:       OpenCL C
    .language_version:
      - 2
      - 0
    .max_flat_workgroup_size: 128
    .name:           _ZN7rocprim17ROCPRIM_304000_NS6detail45device_block_merge_mergepath_partition_kernelINS1_37wrapped_merge_sort_block_merge_configINS0_14default_configEmN2at4cuda3cub6detail10OpaqueTypeILi8EEEEEPmjNS1_19radix_merge_compareILb0ELb1EmNS0_19identity_decomposerEEEEEvT0_T1_jPSH_T2_SH_
    .private_segment_fixed_size: 0
    .sgpr_count:     14
    .sgpr_spill_count: 0
    .symbol:         _ZN7rocprim17ROCPRIM_304000_NS6detail45device_block_merge_mergepath_partition_kernelINS1_37wrapped_merge_sort_block_merge_configINS0_14default_configEmN2at4cuda3cub6detail10OpaqueTypeILi8EEEEEPmjNS1_19radix_merge_compareILb0ELb1EmNS0_19identity_decomposerEEEEEvT0_T1_jPSH_T2_SH_.kd
    .uniform_work_group_size: 1
    .uses_dynamic_stack: false
    .vgpr_count:     16
    .vgpr_spill_count: 0
    .wavefront_size: 64
  - .args:
      - .address_space:  global
        .offset:         0
        .size:           8
        .value_kind:     global_buffer
      - .address_space:  global
        .offset:         8
        .size:           8
        .value_kind:     global_buffer
      - .address_space:  global
        .offset:         16
        .size:           8
        .value_kind:     global_buffer
      - .address_space:  global
        .offset:         24
        .size:           8
        .value_kind:     global_buffer
      - .offset:         32
        .size:           4
        .value_kind:     by_value
      - .offset:         36
        .size:           4
        .value_kind:     by_value
      - .offset:         40
        .size:           4
        .value_kind:     by_value
      - .offset:         48
        .size:           8
        .value_kind:     by_value
      - .address_space:  global
        .offset:         56
        .size:           8
        .value_kind:     global_buffer
      - .address_space:  global
        .offset:         64
        .size:           8
        .value_kind:     global_buffer
      - .offset:         72
        .size:           4
        .value_kind:     hidden_block_count_x
      - .offset:         76
        .size:           4
        .value_kind:     hidden_block_count_y
      - .offset:         80
        .size:           4
        .value_kind:     hidden_block_count_z
      - .offset:         84
        .size:           2
        .value_kind:     hidden_group_size_x
      - .offset:         86
        .size:           2
        .value_kind:     hidden_group_size_y
      - .offset:         88
        .size:           2
        .value_kind:     hidden_group_size_z
      - .offset:         90
        .size:           2
        .value_kind:     hidden_remainder_x
      - .offset:         92
        .size:           2
        .value_kind:     hidden_remainder_y
      - .offset:         94
        .size:           2
        .value_kind:     hidden_remainder_z
      - .offset:         112
        .size:           8
        .value_kind:     hidden_global_offset_x
      - .offset:         120
        .size:           8
        .value_kind:     hidden_global_offset_y
      - .offset:         128
        .size:           8
        .value_kind:     hidden_global_offset_z
      - .offset:         136
        .size:           2
        .value_kind:     hidden_grid_dims
    .group_segment_fixed_size: 8448
    .kernarg_segment_align: 8
    .kernarg_segment_size: 328
    .language:       OpenCL C
    .language_version:
      - 2
      - 0
    .max_flat_workgroup_size: 128
    .name:           _ZN7rocprim17ROCPRIM_304000_NS6detail35device_block_merge_mergepath_kernelINS1_37wrapped_merge_sort_block_merge_configINS0_14default_configEmN2at4cuda3cub6detail10OpaqueTypeILi8EEEEEPmSC_PSA_SD_jNS1_19radix_merge_compareILb0ELb1EmNS0_19identity_decomposerEEEEEvT0_T1_T2_T3_T4_SL_jT5_PKSL_NS1_7vsmem_tE
    .private_segment_fixed_size: 0
    .sgpr_count:     40
    .sgpr_spill_count: 0
    .symbol:         _ZN7rocprim17ROCPRIM_304000_NS6detail35device_block_merge_mergepath_kernelINS1_37wrapped_merge_sort_block_merge_configINS0_14default_configEmN2at4cuda3cub6detail10OpaqueTypeILi8EEEEEPmSC_PSA_SD_jNS1_19radix_merge_compareILb0ELb1EmNS0_19identity_decomposerEEEEEvT0_T1_T2_T3_T4_SL_jT5_PKSL_NS1_7vsmem_tE.kd
    .uniform_work_group_size: 1
    .uses_dynamic_stack: false
    .vgpr_count:     45
    .vgpr_spill_count: 0
    .wavefront_size: 64
  - .args:
      - .address_space:  global
        .offset:         0
        .size:           8
        .value_kind:     global_buffer
      - .address_space:  global
        .offset:         8
        .size:           8
        .value_kind:     global_buffer
      - .address_space:  global
        .offset:         16
        .size:           8
        .value_kind:     global_buffer
      - .address_space:  global
        .offset:         24
        .size:           8
        .value_kind:     global_buffer
      - .offset:         32
        .size:           4
        .value_kind:     by_value
      - .offset:         36
        .size:           4
        .value_kind:     by_value
      - .offset:         40
        .size:           8
        .value_kind:     by_value
    .group_segment_fixed_size: 0
    .kernarg_segment_align: 8
    .kernarg_segment_size: 48
    .language:       OpenCL C
    .language_version:
      - 2
      - 0
    .max_flat_workgroup_size: 256
    .name:           _ZN7rocprim17ROCPRIM_304000_NS6detail33device_block_merge_oddeven_kernelINS1_37wrapped_merge_sort_block_merge_configINS0_14default_configEmN2at4cuda3cub6detail10OpaqueTypeILi8EEEEEPmSC_PSA_SD_jNS1_19radix_merge_compareILb0ELb1EmNS0_19identity_decomposerEEEEEvT0_T1_T2_T3_T4_SL_T5_
    .private_segment_fixed_size: 0
    .sgpr_count:     28
    .sgpr_spill_count: 0
    .symbol:         _ZN7rocprim17ROCPRIM_304000_NS6detail33device_block_merge_oddeven_kernelINS1_37wrapped_merge_sort_block_merge_configINS0_14default_configEmN2at4cuda3cub6detail10OpaqueTypeILi8EEEEEPmSC_PSA_SD_jNS1_19radix_merge_compareILb0ELb1EmNS0_19identity_decomposerEEEEEvT0_T1_T2_T3_T4_SL_T5_.kd
    .uniform_work_group_size: 1
    .uses_dynamic_stack: false
    .vgpr_count:     16
    .vgpr_spill_count: 0
    .wavefront_size: 64
  - .args:
      - .address_space:  global
        .offset:         0
        .size:           8
        .value_kind:     global_buffer
      - .address_space:  global
        .offset:         8
        .size:           8
        .value_kind:     global_buffer
      - .offset:         16
        .size:           8
        .value_kind:     by_value
      - .offset:         24
        .size:           8
        .value_kind:     by_value
      - .offset:         32
        .size:           1
        .value_kind:     by_value
      - .offset:         36
        .size:           4
        .value_kind:     by_value
      - .offset:         40
        .size:           4
        .value_kind:     by_value
    .group_segment_fixed_size: 32768
    .kernarg_segment_align: 8
    .kernarg_segment_size: 44
    .language:       OpenCL C
    .language_version:
      - 2
      - 0
    .max_flat_workgroup_size: 512
    .name:           _ZN7rocprim17ROCPRIM_304000_NS6detail26onesweep_histograms_kernelINS1_34wrapped_radix_sort_onesweep_configINS0_14default_configEmN2at4cuda3cub6detail10OpaqueTypeILi8EEEEELb0EPKmmNS0_19identity_decomposerEEEvT1_PT2_SG_SG_T3_jj
    .private_segment_fixed_size: 0
    .sgpr_count:     30
    .sgpr_spill_count: 0
    .symbol:         _ZN7rocprim17ROCPRIM_304000_NS6detail26onesweep_histograms_kernelINS1_34wrapped_radix_sort_onesweep_configINS0_14default_configEmN2at4cuda3cub6detail10OpaqueTypeILi8EEEEELb0EPKmmNS0_19identity_decomposerEEEvT1_PT2_SG_SG_T3_jj.kd
    .uniform_work_group_size: 1
    .uses_dynamic_stack: false
    .vgpr_count:     25
    .vgpr_spill_count: 0
    .wavefront_size: 64
  - .args:
      - .address_space:  global
        .offset:         0
        .size:           8
        .value_kind:     global_buffer
      - .address_space:  global
        .offset:         8
        .size:           8
        .value_kind:     global_buffer
      - .address_space:  global
        .offset:         16
        .size:           8
        .value_kind:     global_buffer
      - .address_space:  global
        .offset:         24
        .size:           8
        .value_kind:     global_buffer
      - .offset:         32
        .size:           4
        .value_kind:     by_value
      - .address_space:  global
        .offset:         40
        .size:           8
        .value_kind:     global_buffer
      - .address_space:  global
        .offset:         48
        .size:           8
        .value_kind:     global_buffer
      - .address_space:  global
        .offset:         56
        .size:           8
        .value_kind:     global_buffer
      - .offset:         64
        .size:           1
        .value_kind:     by_value
      - .offset:         68
        .size:           4
        .value_kind:     by_value
      - .offset:         72
        .size:           4
        .value_kind:     by_value
      - .offset:         76
        .size:           4
        .value_kind:     by_value
      - .offset:         80
        .size:           4
        .value_kind:     hidden_block_count_x
      - .offset:         84
        .size:           4
        .value_kind:     hidden_block_count_y
      - .offset:         88
        .size:           4
        .value_kind:     hidden_block_count_z
      - .offset:         92
        .size:           2
        .value_kind:     hidden_group_size_x
      - .offset:         94
        .size:           2
        .value_kind:     hidden_group_size_y
      - .offset:         96
        .size:           2
        .value_kind:     hidden_group_size_z
      - .offset:         98
        .size:           2
        .value_kind:     hidden_remainder_x
      - .offset:         100
        .size:           2
        .value_kind:     hidden_remainder_y
      - .offset:         102
        .size:           2
        .value_kind:     hidden_remainder_z
      - .offset:         120
        .size:           8
        .value_kind:     hidden_global_offset_x
      - .offset:         128
        .size:           8
        .value_kind:     hidden_global_offset_y
      - .offset:         136
        .size:           8
        .value_kind:     hidden_global_offset_z
      - .offset:         144
        .size:           2
        .value_kind:     hidden_grid_dims
    .group_segment_fixed_size: 26624
    .kernarg_segment_align: 8
    .kernarg_segment_size: 336
    .language:       OpenCL C
    .language_version:
      - 2
      - 0
    .max_flat_workgroup_size: 512
    .name:           _ZN7rocprim17ROCPRIM_304000_NS6detail25onesweep_iteration_kernelINS1_34wrapped_radix_sort_onesweep_configINS0_14default_configEmN2at4cuda3cub6detail10OpaqueTypeILi8EEEEELb0EPKmPmPKSA_PSA_mNS0_19identity_decomposerEEEvT1_T2_T3_T4_jPT5_SO_PNS1_23onesweep_lookback_stateET6_jjj
    .private_segment_fixed_size: 0
    .sgpr_count:     58
    .sgpr_spill_count: 0
    .symbol:         _ZN7rocprim17ROCPRIM_304000_NS6detail25onesweep_iteration_kernelINS1_34wrapped_radix_sort_onesweep_configINS0_14default_configEmN2at4cuda3cub6detail10OpaqueTypeILi8EEEEELb0EPKmPmPKSA_PSA_mNS0_19identity_decomposerEEEvT1_T2_T3_T4_jPT5_SO_PNS1_23onesweep_lookback_stateET6_jjj.kd
    .uniform_work_group_size: 1
    .uses_dynamic_stack: false
    .vgpr_count:     47
    .vgpr_spill_count: 0
    .wavefront_size: 64
  - .args:
      - .address_space:  global
        .offset:         0
        .size:           8
        .value_kind:     global_buffer
      - .address_space:  global
        .offset:         8
        .size:           8
        .value_kind:     global_buffer
      - .address_space:  global
        .offset:         16
        .size:           8
        .value_kind:     global_buffer
      - .address_space:  global
        .offset:         24
        .size:           8
        .value_kind:     global_buffer
      - .offset:         32
        .size:           4
        .value_kind:     by_value
      - .address_space:  global
        .offset:         40
        .size:           8
        .value_kind:     global_buffer
      - .address_space:  global
        .offset:         48
        .size:           8
        .value_kind:     global_buffer
      - .address_space:  global
        .offset:         56
        .size:           8
        .value_kind:     global_buffer
      - .offset:         64
        .size:           1
        .value_kind:     by_value
      - .offset:         68
        .size:           4
        .value_kind:     by_value
      - .offset:         72
        .size:           4
        .value_kind:     by_value
      - .offset:         76
        .size:           4
        .value_kind:     by_value
      - .offset:         80
        .size:           4
        .value_kind:     hidden_block_count_x
      - .offset:         84
        .size:           4
        .value_kind:     hidden_block_count_y
      - .offset:         88
        .size:           4
        .value_kind:     hidden_block_count_z
      - .offset:         92
        .size:           2
        .value_kind:     hidden_group_size_x
      - .offset:         94
        .size:           2
        .value_kind:     hidden_group_size_y
      - .offset:         96
        .size:           2
        .value_kind:     hidden_group_size_z
      - .offset:         98
        .size:           2
        .value_kind:     hidden_remainder_x
      - .offset:         100
        .size:           2
        .value_kind:     hidden_remainder_y
      - .offset:         102
        .size:           2
        .value_kind:     hidden_remainder_z
      - .offset:         120
        .size:           8
        .value_kind:     hidden_global_offset_x
      - .offset:         128
        .size:           8
        .value_kind:     hidden_global_offset_y
      - .offset:         136
        .size:           8
        .value_kind:     hidden_global_offset_z
      - .offset:         144
        .size:           2
        .value_kind:     hidden_grid_dims
    .group_segment_fixed_size: 26624
    .kernarg_segment_align: 8
    .kernarg_segment_size: 336
    .language:       OpenCL C
    .language_version:
      - 2
      - 0
    .max_flat_workgroup_size: 512
    .name:           _ZN7rocprim17ROCPRIM_304000_NS6detail25onesweep_iteration_kernelINS1_34wrapped_radix_sort_onesweep_configINS0_14default_configEmN2at4cuda3cub6detail10OpaqueTypeILi8EEEEELb0EPmSC_PSA_SD_mNS0_19identity_decomposerEEEvT1_T2_T3_T4_jPT5_SK_PNS1_23onesweep_lookback_stateET6_jjj
    .private_segment_fixed_size: 0
    .sgpr_count:     58
    .sgpr_spill_count: 0
    .symbol:         _ZN7rocprim17ROCPRIM_304000_NS6detail25onesweep_iteration_kernelINS1_34wrapped_radix_sort_onesweep_configINS0_14default_configEmN2at4cuda3cub6detail10OpaqueTypeILi8EEEEELb0EPmSC_PSA_SD_mNS0_19identity_decomposerEEEvT1_T2_T3_T4_jPT5_SK_PNS1_23onesweep_lookback_stateET6_jjj.kd
    .uniform_work_group_size: 1
    .uses_dynamic_stack: false
    .vgpr_count:     47
    .vgpr_spill_count: 0
    .wavefront_size: 64
amdhsa.target:   amdgcn-amd-amdhsa--gfx906
amdhsa.version:
  - 1
  - 2
...

	.end_amdgpu_metadata
